;; amdgpu-corpus repo=ROCm/rocFFT kind=compiled arch=gfx1201 opt=O3
	.text
	.amdgcn_target "amdgcn-amd-amdhsa--gfx1201"
	.amdhsa_code_object_version 6
	.protected	fft_rtc_fwd_len2250_factors_10_3_5_3_5_wgs_90_tpt_90_halfLds_half_ip_CI_unitstride_sbrr_R2C_dirReg ; -- Begin function fft_rtc_fwd_len2250_factors_10_3_5_3_5_wgs_90_tpt_90_halfLds_half_ip_CI_unitstride_sbrr_R2C_dirReg
	.globl	fft_rtc_fwd_len2250_factors_10_3_5_3_5_wgs_90_tpt_90_halfLds_half_ip_CI_unitstride_sbrr_R2C_dirReg
	.p2align	8
	.type	fft_rtc_fwd_len2250_factors_10_3_5_3_5_wgs_90_tpt_90_halfLds_half_ip_CI_unitstride_sbrr_R2C_dirReg,@function
fft_rtc_fwd_len2250_factors_10_3_5_3_5_wgs_90_tpt_90_halfLds_half_ip_CI_unitstride_sbrr_R2C_dirReg: ; @fft_rtc_fwd_len2250_factors_10_3_5_3_5_wgs_90_tpt_90_halfLds_half_ip_CI_unitstride_sbrr_R2C_dirReg
; %bb.0:
	s_clause 0x2
	s_load_b128 s[4:7], s[0:1], 0x0
	s_load_b64 s[8:9], s[0:1], 0x50
	s_load_b64 s[10:11], s[0:1], 0x18
	v_mul_u32_u24_e32 v1, 0x2d9, v0
	v_mov_b32_e32 v3, 0
	s_delay_alu instid0(VALU_DEP_2) | instskip(NEXT) | instid1(VALU_DEP_1)
	v_lshrrev_b32_e32 v1, 16, v1
	v_add_nc_u32_e32 v5, ttmp9, v1
	v_mov_b32_e32 v1, 0
	v_mov_b32_e32 v2, 0
	;; [unrolled: 1-line block ×3, first 2 shown]
	s_wait_kmcnt 0x0
	v_cmp_lt_u64_e64 s2, s[6:7], 2
	s_delay_alu instid0(VALU_DEP_1)
	s_and_b32 vcc_lo, exec_lo, s2
	s_cbranch_vccnz .LBB0_8
; %bb.1:
	s_load_b64 s[2:3], s[0:1], 0x10
	v_mov_b32_e32 v1, 0
	v_mov_b32_e32 v2, 0
	s_add_nc_u64 s[12:13], s[10:11], 8
	s_mov_b64 s[14:15], 1
	s_wait_kmcnt 0x0
	s_add_nc_u64 s[16:17], s[2:3], 8
	s_mov_b32 s3, 0
.LBB0_2:                                ; =>This Inner Loop Header: Depth=1
	s_load_b64 s[18:19], s[16:17], 0x0
                                        ; implicit-def: $vgpr7_vgpr8
	s_mov_b32 s2, exec_lo
	s_wait_kmcnt 0x0
	v_or_b32_e32 v4, s19, v6
	s_delay_alu instid0(VALU_DEP_1)
	v_cmpx_ne_u64_e32 0, v[3:4]
	s_wait_alu 0xfffe
	s_xor_b32 s20, exec_lo, s2
	s_cbranch_execz .LBB0_4
; %bb.3:                                ;   in Loop: Header=BB0_2 Depth=1
	s_cvt_f32_u32 s2, s18
	s_cvt_f32_u32 s21, s19
	s_sub_nc_u64 s[24:25], 0, s[18:19]
	s_wait_alu 0xfffe
	s_delay_alu instid0(SALU_CYCLE_1) | instskip(SKIP_1) | instid1(SALU_CYCLE_2)
	s_fmamk_f32 s2, s21, 0x4f800000, s2
	s_wait_alu 0xfffe
	v_s_rcp_f32 s2, s2
	s_delay_alu instid0(TRANS32_DEP_1) | instskip(SKIP_1) | instid1(SALU_CYCLE_2)
	s_mul_f32 s2, s2, 0x5f7ffffc
	s_wait_alu 0xfffe
	s_mul_f32 s21, s2, 0x2f800000
	s_wait_alu 0xfffe
	s_delay_alu instid0(SALU_CYCLE_2) | instskip(SKIP_1) | instid1(SALU_CYCLE_2)
	s_trunc_f32 s21, s21
	s_wait_alu 0xfffe
	s_fmamk_f32 s2, s21, 0xcf800000, s2
	s_cvt_u32_f32 s23, s21
	s_wait_alu 0xfffe
	s_delay_alu instid0(SALU_CYCLE_1) | instskip(SKIP_1) | instid1(SALU_CYCLE_2)
	s_cvt_u32_f32 s22, s2
	s_wait_alu 0xfffe
	s_mul_u64 s[26:27], s[24:25], s[22:23]
	s_wait_alu 0xfffe
	s_mul_hi_u32 s29, s22, s27
	s_mul_i32 s28, s22, s27
	s_mul_hi_u32 s2, s22, s26
	s_mul_i32 s30, s23, s26
	s_wait_alu 0xfffe
	s_add_nc_u64 s[28:29], s[2:3], s[28:29]
	s_mul_hi_u32 s21, s23, s26
	s_mul_hi_u32 s31, s23, s27
	s_add_co_u32 s2, s28, s30
	s_wait_alu 0xfffe
	s_add_co_ci_u32 s2, s29, s21
	s_mul_i32 s26, s23, s27
	s_add_co_ci_u32 s27, s31, 0
	s_wait_alu 0xfffe
	s_add_nc_u64 s[26:27], s[2:3], s[26:27]
	s_wait_alu 0xfffe
	v_add_co_u32 v4, s2, s22, s26
	s_delay_alu instid0(VALU_DEP_1) | instskip(SKIP_1) | instid1(VALU_DEP_1)
	s_cmp_lg_u32 s2, 0
	s_add_co_ci_u32 s23, s23, s27
	v_readfirstlane_b32 s22, v4
	s_wait_alu 0xfffe
	s_delay_alu instid0(VALU_DEP_1)
	s_mul_u64 s[24:25], s[24:25], s[22:23]
	s_wait_alu 0xfffe
	s_mul_hi_u32 s27, s22, s25
	s_mul_i32 s26, s22, s25
	s_mul_hi_u32 s2, s22, s24
	s_mul_i32 s28, s23, s24
	s_wait_alu 0xfffe
	s_add_nc_u64 s[26:27], s[2:3], s[26:27]
	s_mul_hi_u32 s21, s23, s24
	s_mul_hi_u32 s22, s23, s25
	s_wait_alu 0xfffe
	s_add_co_u32 s2, s26, s28
	s_add_co_ci_u32 s2, s27, s21
	s_mul_i32 s24, s23, s25
	s_add_co_ci_u32 s25, s22, 0
	s_wait_alu 0xfffe
	s_add_nc_u64 s[24:25], s[2:3], s[24:25]
	s_wait_alu 0xfffe
	v_add_co_u32 v4, s2, v4, s24
	s_delay_alu instid0(VALU_DEP_1) | instskip(SKIP_1) | instid1(VALU_DEP_1)
	s_cmp_lg_u32 s2, 0
	s_add_co_ci_u32 s2, s23, s25
	v_mul_hi_u32 v13, v5, v4
	s_wait_alu 0xfffe
	v_mad_co_u64_u32 v[7:8], null, v5, s2, 0
	v_mad_co_u64_u32 v[9:10], null, v6, v4, 0
	;; [unrolled: 1-line block ×3, first 2 shown]
	s_delay_alu instid0(VALU_DEP_3) | instskip(SKIP_1) | instid1(VALU_DEP_4)
	v_add_co_u32 v4, vcc_lo, v13, v7
	s_wait_alu 0xfffd
	v_add_co_ci_u32_e32 v7, vcc_lo, 0, v8, vcc_lo
	s_delay_alu instid0(VALU_DEP_2) | instskip(SKIP_1) | instid1(VALU_DEP_2)
	v_add_co_u32 v4, vcc_lo, v4, v9
	s_wait_alu 0xfffd
	v_add_co_ci_u32_e32 v4, vcc_lo, v7, v10, vcc_lo
	s_wait_alu 0xfffd
	v_add_co_ci_u32_e32 v7, vcc_lo, 0, v12, vcc_lo
	s_delay_alu instid0(VALU_DEP_2) | instskip(SKIP_1) | instid1(VALU_DEP_2)
	v_add_co_u32 v4, vcc_lo, v4, v11
	s_wait_alu 0xfffd
	v_add_co_ci_u32_e32 v9, vcc_lo, 0, v7, vcc_lo
	s_delay_alu instid0(VALU_DEP_2) | instskip(SKIP_1) | instid1(VALU_DEP_3)
	v_mul_lo_u32 v10, s19, v4
	v_mad_co_u64_u32 v[7:8], null, s18, v4, 0
	v_mul_lo_u32 v11, s18, v9
	s_delay_alu instid0(VALU_DEP_2) | instskip(NEXT) | instid1(VALU_DEP_2)
	v_sub_co_u32 v7, vcc_lo, v5, v7
	v_add3_u32 v8, v8, v11, v10
	s_delay_alu instid0(VALU_DEP_1) | instskip(SKIP_1) | instid1(VALU_DEP_1)
	v_sub_nc_u32_e32 v10, v6, v8
	s_wait_alu 0xfffd
	v_subrev_co_ci_u32_e64 v10, s2, s19, v10, vcc_lo
	v_add_co_u32 v11, s2, v4, 2
	s_wait_alu 0xf1ff
	v_add_co_ci_u32_e64 v12, s2, 0, v9, s2
	v_sub_co_u32 v13, s2, v7, s18
	v_sub_co_ci_u32_e32 v8, vcc_lo, v6, v8, vcc_lo
	s_wait_alu 0xf1ff
	v_subrev_co_ci_u32_e64 v10, s2, 0, v10, s2
	s_delay_alu instid0(VALU_DEP_3) | instskip(NEXT) | instid1(VALU_DEP_3)
	v_cmp_le_u32_e32 vcc_lo, s18, v13
	v_cmp_eq_u32_e64 s2, s19, v8
	s_wait_alu 0xfffd
	v_cndmask_b32_e64 v13, 0, -1, vcc_lo
	v_cmp_le_u32_e32 vcc_lo, s19, v10
	s_wait_alu 0xfffd
	v_cndmask_b32_e64 v14, 0, -1, vcc_lo
	v_cmp_le_u32_e32 vcc_lo, s18, v7
	;; [unrolled: 3-line block ×3, first 2 shown]
	s_wait_alu 0xfffd
	v_cndmask_b32_e64 v15, 0, -1, vcc_lo
	v_cmp_eq_u32_e32 vcc_lo, s19, v10
	s_wait_alu 0xf1ff
	s_delay_alu instid0(VALU_DEP_2)
	v_cndmask_b32_e64 v7, v15, v7, s2
	s_wait_alu 0xfffd
	v_cndmask_b32_e32 v10, v14, v13, vcc_lo
	v_add_co_u32 v13, vcc_lo, v4, 1
	s_wait_alu 0xfffd
	v_add_co_ci_u32_e32 v14, vcc_lo, 0, v9, vcc_lo
	s_delay_alu instid0(VALU_DEP_3) | instskip(SKIP_2) | instid1(VALU_DEP_3)
	v_cmp_ne_u32_e32 vcc_lo, 0, v10
	s_wait_alu 0xfffd
	v_cndmask_b32_e32 v10, v13, v11, vcc_lo
	v_cndmask_b32_e32 v8, v14, v12, vcc_lo
	v_cmp_ne_u32_e32 vcc_lo, 0, v7
	s_wait_alu 0xfffd
	s_delay_alu instid0(VALU_DEP_2)
	v_dual_cndmask_b32 v7, v4, v10 :: v_dual_cndmask_b32 v8, v9, v8
.LBB0_4:                                ;   in Loop: Header=BB0_2 Depth=1
	s_wait_alu 0xfffe
	s_and_not1_saveexec_b32 s2, s20
	s_cbranch_execz .LBB0_6
; %bb.5:                                ;   in Loop: Header=BB0_2 Depth=1
	v_cvt_f32_u32_e32 v4, s18
	s_sub_co_i32 s20, 0, s18
	s_delay_alu instid0(VALU_DEP_1) | instskip(NEXT) | instid1(TRANS32_DEP_1)
	v_rcp_iflag_f32_e32 v4, v4
	v_mul_f32_e32 v4, 0x4f7ffffe, v4
	s_delay_alu instid0(VALU_DEP_1) | instskip(SKIP_1) | instid1(VALU_DEP_1)
	v_cvt_u32_f32_e32 v4, v4
	s_wait_alu 0xfffe
	v_mul_lo_u32 v7, s20, v4
	s_delay_alu instid0(VALU_DEP_1) | instskip(NEXT) | instid1(VALU_DEP_1)
	v_mul_hi_u32 v7, v4, v7
	v_add_nc_u32_e32 v4, v4, v7
	s_delay_alu instid0(VALU_DEP_1) | instskip(NEXT) | instid1(VALU_DEP_1)
	v_mul_hi_u32 v4, v5, v4
	v_mul_lo_u32 v7, v4, s18
	v_add_nc_u32_e32 v8, 1, v4
	s_delay_alu instid0(VALU_DEP_2) | instskip(NEXT) | instid1(VALU_DEP_1)
	v_sub_nc_u32_e32 v7, v5, v7
	v_subrev_nc_u32_e32 v9, s18, v7
	v_cmp_le_u32_e32 vcc_lo, s18, v7
	s_wait_alu 0xfffd
	s_delay_alu instid0(VALU_DEP_2) | instskip(NEXT) | instid1(VALU_DEP_1)
	v_dual_cndmask_b32 v7, v7, v9 :: v_dual_cndmask_b32 v4, v4, v8
	v_cmp_le_u32_e32 vcc_lo, s18, v7
	s_delay_alu instid0(VALU_DEP_2) | instskip(SKIP_1) | instid1(VALU_DEP_1)
	v_add_nc_u32_e32 v8, 1, v4
	s_wait_alu 0xfffd
	v_dual_cndmask_b32 v7, v4, v8 :: v_dual_mov_b32 v8, v3
.LBB0_6:                                ;   in Loop: Header=BB0_2 Depth=1
	s_wait_alu 0xfffe
	s_or_b32 exec_lo, exec_lo, s2
	s_load_b64 s[20:21], s[12:13], 0x0
	s_delay_alu instid0(VALU_DEP_1)
	v_mul_lo_u32 v4, v8, s18
	v_mul_lo_u32 v11, v7, s19
	v_mad_co_u64_u32 v[9:10], null, v7, s18, 0
	s_add_nc_u64 s[14:15], s[14:15], 1
	s_add_nc_u64 s[12:13], s[12:13], 8
	s_wait_alu 0xfffe
	v_cmp_ge_u64_e64 s2, s[14:15], s[6:7]
	s_add_nc_u64 s[16:17], s[16:17], 8
	s_delay_alu instid0(VALU_DEP_2) | instskip(NEXT) | instid1(VALU_DEP_3)
	v_add3_u32 v4, v10, v11, v4
	v_sub_co_u32 v5, vcc_lo, v5, v9
	s_wait_alu 0xfffd
	s_delay_alu instid0(VALU_DEP_2) | instskip(SKIP_3) | instid1(VALU_DEP_2)
	v_sub_co_ci_u32_e32 v4, vcc_lo, v6, v4, vcc_lo
	s_and_b32 vcc_lo, exec_lo, s2
	s_wait_kmcnt 0x0
	v_mul_lo_u32 v6, s21, v5
	v_mul_lo_u32 v4, s20, v4
	v_mad_co_u64_u32 v[1:2], null, s20, v5, v[1:2]
	s_delay_alu instid0(VALU_DEP_1)
	v_add3_u32 v2, v6, v2, v4
	s_wait_alu 0xfffe
	s_cbranch_vccnz .LBB0_9
; %bb.7:                                ;   in Loop: Header=BB0_2 Depth=1
	v_dual_mov_b32 v5, v7 :: v_dual_mov_b32 v6, v8
	s_branch .LBB0_2
.LBB0_8:
	v_dual_mov_b32 v8, v6 :: v_dual_mov_b32 v7, v5
.LBB0_9:
	s_lshl_b64 s[2:3], s[6:7], 3
	v_mul_hi_u32 v3, 0x2d82d83, v0
	s_wait_alu 0xfffe
	s_add_nc_u64 s[2:3], s[10:11], s[2:3]
	s_load_b64 s[2:3], s[2:3], 0x0
	s_load_b64 s[0:1], s[0:1], 0x20
	s_delay_alu instid0(VALU_DEP_1) | instskip(NEXT) | instid1(VALU_DEP_1)
	v_mul_u32_u24_e32 v3, 0x5a, v3
	v_sub_nc_u32_e32 v20, v0, v3
	s_delay_alu instid0(VALU_DEP_1)
	v_add_nc_u32_e32 v24, 0x5a, v20
	v_add_nc_u32_e32 v26, 0xb4, v20
	s_wait_kmcnt 0x0
	v_mul_lo_u32 v4, s2, v8
	v_mul_lo_u32 v5, s3, v7
	v_mad_co_u64_u32 v[1:2], null, s2, v7, v[1:2]
	v_cmp_gt_u64_e32 vcc_lo, s[0:1], v[7:8]
	v_cmp_le_u64_e64 s0, s[0:1], v[7:8]
	s_delay_alu instid0(VALU_DEP_3) | instskip(NEXT) | instid1(VALU_DEP_2)
	v_add3_u32 v2, v5, v2, v4
	s_and_saveexec_b32 s1, s0
	s_wait_alu 0xfffe
	s_xor_b32 s0, exec_lo, s1
; %bb.10:
	v_add_nc_u32_e32 v24, 0x5a, v20
	v_add_nc_u32_e32 v26, 0xb4, v20
; %bb.11:
	s_wait_alu 0xfffe
	s_or_saveexec_b32 s1, s0
	v_lshlrev_b64_e32 v[22:23], 2, v[1:2]
	v_lshl_add_u32 v45, v20, 2, 0
	s_wait_alu 0xfffe
	s_xor_b32 exec_lo, exec_lo, s1
	s_cbranch_execz .LBB0_13
; %bb.12:
	s_delay_alu instid0(VALU_DEP_1) | instskip(SKIP_3) | instid1(VALU_DEP_3)
	v_dual_mov_b32 v21, 0 :: v_dual_add_nc_u32 v32, 0x800, v45
	v_add_co_u32 v2, s0, s8, v22
	s_wait_alu 0xf1ff
	v_add_co_ci_u32_e64 v3, s0, s9, v23, s0
	v_lshlrev_b64_e32 v[0:1], 2, v[20:21]
	v_add_nc_u32_e32 v31, 0x400, v45
	v_add_nc_u32_e32 v33, 0xa00, v45
	;; [unrolled: 1-line block ×5, first 2 shown]
	v_add_co_u32 v0, s0, v2, v0
	s_wait_alu 0xf1ff
	v_add_co_ci_u32_e64 v1, s0, v3, v1, s0
	v_add_nc_u32_e32 v37, 0x1400, v45
	v_add_nc_u32_e32 v38, 0x1800, v45
	s_clause 0x18
	global_load_b32 v2, v[0:1], off
	global_load_b32 v3, v[0:1], off offset:360
	global_load_b32 v4, v[0:1], off offset:720
	;; [unrolled: 1-line block ×24, first 2 shown]
	v_add_nc_u32_e32 v1, 0x200, v45
	v_add_nc_u32_e32 v39, 0x1c00, v45
	;; [unrolled: 1-line block ×3, first 2 shown]
	s_wait_loadcnt 0x17
	ds_store_2addr_b32 v45, v2, v3 offset1:90
	s_wait_loadcnt 0x15
	ds_store_2addr_b32 v1, v4, v5 offset0:52 offset1:142
	s_wait_loadcnt 0x13
	ds_store_2addr_b32 v31, v6, v7 offset0:104 offset1:194
	;; [unrolled: 2-line block ×11, first 2 shown]
	s_wait_loadcnt 0x0
	ds_store_b32 v45, v0 offset:8640
.LBB0_13:
	s_or_b32 exec_lo, exec_lo, s1
	v_add_nc_u32_e32 v33, 0x800, v45
	v_add_nc_u32_e32 v21, 0x400, v45
	;; [unrolled: 1-line block ×6, first 2 shown]
	global_wb scope:SCOPE_SE
	s_wait_dscnt 0x0
	s_barrier_signal -1
	s_barrier_wait -1
	global_inv scope:SCOPE_SE
	ds_load_2addr_b32 v[0:1], v45 offset0:180 offset1:225
	ds_load_2addr_b32 v[10:11], v21 offset0:59 offset1:149
	;; [unrolled: 1-line block ×7, first 2 shown]
	v_add_nc_u32_e32 v32, 0x1200, v45
	v_add_nc_u32_e32 v34, 0x1800, v45
	;; [unrolled: 1-line block ×3, first 2 shown]
	v_mul_i32_i24_e32 v70, 10, v24
	v_cmp_gt_u32_e64 s0, 45, v20
	ds_load_2addr_b32 v[14:15], v32 offset0:63 offset1:153
	ds_load_2addr_b32 v[16:17], v34 offset0:129 offset1:219
	;; [unrolled: 1-line block ×3, first 2 shown]
	s_wait_dscnt 0x7
	v_pk_add_f16 v27, v0, v6
	s_wait_dscnt 0x4
	v_pk_add_f16 v29, v8, v2
	s_wait_dscnt 0x3
	v_pk_add_f16 v37, v6, v4 neg_lo:[0,1] neg_hi:[0,1]
	v_pk_add_f16 v28, v11, v13
	v_pk_add_f16 v40, v8, v2 neg_lo:[0,1] neg_hi:[0,1]
	v_pk_add_f16 v30, v6, v8 neg_lo:[0,1] neg_hi:[0,1]
	v_pk_add_f16 v27, v27, v8
	v_pk_fma_f16 v29, v29, 0.5, v0 op_sel_hi:[1,0,1] neg_lo:[1,0,0] neg_hi:[1,0,0]
	v_pk_mul_f16 v31, 0x3b9c, v37 op_sel_hi:[0,1]
	v_pk_add_f16 v35, v4, v2 neg_lo:[0,1] neg_hi:[0,1]
	s_wait_dscnt 0x2
	v_pk_add_f16 v28, v28, v15
	v_pk_mul_f16 v39, 0x38b4, v40 op_sel_hi:[0,1]
	v_pk_add_f16 v27, v27, v2
	v_pk_add_f16 v38, v29, v31 op_sel:[0,1] op_sel_hi:[1,0]
	v_pk_add_f16 v30, v30, v35
	s_wait_dscnt 0x1
	v_pk_add_f16 v35, v15, v17
	v_pk_add_f16 v28, v28, v17
	v_pk_add_f16 v29, v29, v31 op_sel:[0,1] op_sel_hi:[1,0] neg_lo:[0,1] neg_hi:[0,1]
	v_pk_add_f16 v36, v27, v4
	v_pk_add_f16 v27, v39, v38 op_sel:[1,0] op_sel_hi:[0,1]
	v_pk_mul_f16 v41, 0x34f2, v30 op_sel_hi:[0,1]
	v_pk_fma_f16 v31, v35, 0.5, v11 op_sel_hi:[1,0,1] neg_lo:[1,0,0] neg_hi:[1,0,0]
	s_wait_dscnt 0x0
	v_pk_add_f16 v42, v13, v19 neg_lo:[0,1] neg_hi:[0,1]
	v_pk_add_f16 v38, v28, v19
	v_pk_add_f16 v28, v29, v39 op_sel:[0,1] op_sel_hi:[1,0] neg_lo:[0,1] neg_hi:[0,1]
	v_add_nc_u32_e32 v39, 0xc00, v45
	v_add_f16_e32 v43, v41, v27
	v_lshrrev_b32_e32 v29, 16, v41
	v_add_nc_u32_e32 v41, 0x1400, v45
	v_add_nc_u32_e32 v35, 0x600, v45
	v_pk_fma_f16 v44, 0x3b9c, v42, v31 op_sel:[0,0,1] op_sel_hi:[0,1,0]
	v_pk_add_f16 v47, v13, v15 neg_lo:[0,1] neg_hi:[0,1]
	v_pk_add_f16 v48, v19, v17 neg_lo:[0,1] neg_hi:[0,1]
	v_pk_add_f16 v46, v15, v17 neg_lo:[0,1] neg_hi:[0,1]
	v_pk_fma_f16 v31, 0x3b9c, v42, v31 op_sel:[0,0,1] op_sel_hi:[0,1,0] neg_lo:[0,1,0] neg_hi:[0,1,0]
	ds_load_2addr_b32 v[51:52], v39 offset0:132 offset1:222
	ds_load_2addr_b32 v[53:54], v41 offset0:70 offset1:160
	;; [unrolled: 1-line block ×4, first 2 shown]
	ds_load_2addr_b32 v[59:60], v45 offset1:90
	v_pk_add_f16 v47, v47, v48
	v_pk_fma_f16 v48, 0x38b4, v46, v44 op_sel_hi:[0,1,1]
	v_pk_fma_f16 v31, 0x38b4, v46, v31 op_sel_hi:[0,1,1] neg_lo:[0,1,0] neg_hi:[0,1,0]
	v_lshrrev_b32_e32 v49, 16, v44
	v_lshrrev_b32_e32 v44, 16, v46
	v_pk_mul_f16 v47, 0x34f2, v47 op_sel_hi:[0,1]
	v_lshrrev_b32_e32 v50, 16, v28
	v_bfi_b32 v48, 0xffff, v48, v31
	v_bfi_b32 v27, 0xffff, v28, v27
	v_fmac_f16_e32 v49, 0x38b4, v44
	v_lshrrev_b32_e32 v28, 16, v47
	v_sub_f16_e32 v76, v18, v16
	v_pk_add_f16 v61, v47, v48 op_sel:[1,0] op_sel_hi:[0,1]
	v_add_f16_e32 v48, v29, v50
	v_pk_fma_f16 v44, 0x34f2, v30, v27 op_sel_hi:[0,1,1]
	v_add_f16_e32 v27, v47, v49
	s_wait_dscnt 0x3
	v_add_f16_e32 v30, v52, v54
	v_pk_mul_f16 v29, 0x3a79, v61 op_sel_hi:[0,1]
	s_wait_dscnt 0x2
	v_lshrrev_b32_e32 v62, 16, v56
	s_wait_dscnt 0x1
	v_lshrrev_b32_e32 v63, 16, v58
	v_add_f16_e32 v28, v28, v31
	v_mul_f16_e32 v49, 0x3a79, v27
	v_pk_fma_f16 v47, 0xb8b438b4, v61, v29 op_sel:[0,0,1] op_sel_hi:[1,1,0] neg_lo:[0,0,1] neg_hi:[0,0,1]
	v_mul_f16_e32 v50, 0xb8b4, v27
	s_wait_dscnt 0x0
	v_fma_f16 v61, -0.5, v30, v60
	v_sub_f16_e32 v64, v62, v63
	v_lshrrev_b32_e32 v65, 16, v52
	v_lshrrev_b32_e32 v66, 16, v54
	v_add_f16_e32 v69, v56, v58
	v_fmac_f16_e32 v49, 0x38b4, v28
	v_fmac_f16_e32 v50, 0x3a79, v28
	v_fmamk_f16 v28, v64, 0x3b9c, v61
	v_sub_f16_e32 v67, v65, v66
	v_sub_f16_e32 v31, v58, v54
	;; [unrolled: 1-line block ×3, first 2 shown]
	v_fma_f16 v69, -0.5, v69, v60
	v_fmac_f16_e32 v61, 0xbb9c, v64
	v_add_f16_e32 v74, v65, v66
	v_lshrrev_b32_e32 v75, 16, v60
	v_fmac_f16_e32 v28, 0x38b4, v67
	v_add_f16_e32 v68, v68, v31
	v_fmamk_f16 v71, v67, 0xbb9c, v69
	v_sub_f16_e32 v72, v54, v58
	v_sub_f16_e32 v73, v52, v56
	v_fmac_f16_e32 v61, 0xb8b4, v67
	v_fmac_f16_e32 v69, 0x3b9c, v67
	v_pk_add_f16 v60, v60, v56
	v_fma_f16 v67, -0.5, v74, v75
	v_sub_f16_e32 v56, v56, v58
	v_fmac_f16_e32 v28, 0x34f2, v68
	v_fmac_f16_e32 v71, 0x38b4, v64
	v_add_f16_e32 v72, v73, v72
	v_fmac_f16_e32 v61, 0x34f2, v68
	v_fmac_f16_e32 v69, 0xb8b4, v64
	v_pk_add_f16 v60, v60, v52
	v_fmamk_f16 v64, v56, 0xbb9c, v67
	v_sub_f16_e32 v52, v52, v54
	v_sub_f16_e32 v68, v62, v65
	;; [unrolled: 1-line block ×3, first 2 shown]
	v_fmac_f16_e32 v67, 0x3b9c, v56
	v_pk_add_f16 v54, v60, v54
	v_fmac_f16_e32 v64, 0xb8b4, v52
	v_fmac_f16_e32 v71, 0x34f2, v72
	v_add_f16_e32 v60, v68, v73
	v_fmac_f16_e32 v67, 0x38b4, v52
	v_add_f16_e32 v74, v62, v63
	v_fmac_f16_e32 v69, 0x34f2, v72
	v_lshrrev_b32_e32 v68, 16, v12
	v_fmac_f16_e32 v64, 0x34f2, v60
	v_fmac_f16_e32 v67, 0x34f2, v60
	v_add_f16_e32 v60, v14, v16
	v_lshrrev_b32_e32 v72, 16, v18
	v_fmac_f16_e32 v75, -0.5, v74
	v_sub_f16_e32 v62, v65, v62
	v_sub_f16_e32 v63, v66, v63
	v_fma_f16 v60, -0.5, v60, v10
	v_sub_f16_e32 v65, v68, v72
	v_lshrrev_b32_e32 v66, 16, v14
	v_lshrrev_b32_e32 v73, 16, v16
	v_pk_add_f16 v54, v54, v58
	v_fmamk_f16 v58, v52, 0x3b9c, v75
	v_fmac_f16_e32 v75, 0xbb9c, v52
	v_fmamk_f16 v52, v65, 0x3b9c, v60
	v_sub_f16_e32 v74, v66, v73
	v_sub_f16_e32 v77, v12, v14
	v_fmac_f16_e32 v60, 0xbb9c, v65
	v_fmac_f16_e32 v58, 0xb8b4, v56
	v_add_f16_e32 v62, v62, v63
	v_fmac_f16_e32 v75, 0x38b4, v56
	v_fmac_f16_e32 v52, 0x38b4, v74
	v_add_f16_e32 v56, v77, v76
	v_fmac_f16_e32 v60, 0xb8b4, v74
	v_add_f16_e32 v63, v12, v18
	v_fmac_f16_e32 v58, 0x34f2, v62
	v_fmac_f16_e32 v75, 0x34f2, v62
	;; [unrolled: 1-line block ×4, first 2 shown]
	v_add_f16_e32 v56, v66, v73
	v_lshrrev_b32_e32 v62, 16, v10
	v_add_f16_e32 v79, v68, v72
	v_fma_f16 v63, -0.5, v63, v10
	v_sub_f16_e32 v77, v16, v18
	v_sub_f16_e32 v78, v14, v12
	v_fma_f16 v56, -0.5, v56, v62
	v_sub_f16_e32 v80, v14, v16
	v_fmac_f16_e32 v62, -0.5, v79
	v_fmamk_f16 v76, v74, 0xbb9c, v63
	v_fmac_f16_e32 v63, 0x3b9c, v74
	v_sub_f16_e32 v74, v12, v18
	v_add_f16_e32 v77, v78, v77
	v_sub_f16_e32 v78, v68, v66
	v_fmamk_f16 v79, v80, 0x3b9c, v62
	v_sub_f16_e32 v66, v66, v68
	v_sub_f16_e32 v68, v73, v72
	v_fmac_f16_e32 v76, 0x38b4, v65
	v_fmac_f16_e32 v63, 0xb8b4, v65
	v_fmamk_f16 v65, v74, 0xbb9c, v56
	v_sub_f16_e32 v72, v72, v73
	v_fmac_f16_e32 v79, 0xb8b4, v74
	v_add_f16_e32 v66, v66, v68
	v_fmac_f16_e32 v56, 0x3b9c, v74
	v_fmac_f16_e32 v62, 0xbb9c, v80
	v_add_f16_e32 v68, v78, v72
	v_fmac_f16_e32 v65, 0xb8b4, v80
	v_fmac_f16_e32 v79, 0x34f2, v66
	;; [unrolled: 1-line block ×6, first 2 shown]
	v_mul_f16_e32 v72, 0x3b9c, v79
	v_fmac_f16_e32 v56, 0x34f2, v68
	v_fmac_f16_e32 v65, 0x34f2, v68
	;; [unrolled: 1-line block ×3, first 2 shown]
	v_mul_f16_e32 v66, 0x3a79, v52
	v_mul_f16_e32 v73, 0x34f2, v63
	v_fmac_f16_e32 v72, 0x34f2, v76
	v_mul_f16_e32 v52, 0xb8b4, v52
	v_mul_f16_e32 v76, 0xbb9c, v76
	;; [unrolled: 1-line block ×3, first 2 shown]
	v_pk_add_f16 v10, v10, v12
	v_fmac_f16_e32 v66, 0x38b4, v65
	v_fma_f16 v12, v62, 0x3b9c, -v73
	v_mul_f16_e32 v74, 0x3a79, v60
	v_fmac_f16_e32 v52, 0x3a79, v65
	v_fmac_f16_e32 v76, 0x34f2, v79
	v_fma_f16 v60, v60, 0xb8b4, -v77
	v_pk_add_f16 v10, v10, v14
	v_add_f16_e32 v14, v28, v66
	v_add_f16_e32 v68, v71, v72
	;; [unrolled: 1-line block ×3, first 2 shown]
	v_mul_f16_e32 v62, 0x34f2, v62
	v_fma_f16 v56, v56, 0x38b4, -v74
	v_add_f16_e32 v65, v64, v52
	v_add_f16_e32 v74, v58, v76
	;; [unrolled: 1-line block ×3, first 2 shown]
	v_sub_f16_e32 v66, v28, v66
	v_sub_f16_e32 v71, v71, v72
	;; [unrolled: 1-line block ×3, first 2 shown]
	v_add_f16_e32 v28, v51, v53
	v_lshrrev_b32_e32 v69, 16, v55
	v_lshrrev_b32_e32 v72, 16, v57
	v_sub_f16_e32 v52, v64, v52
	v_sub_f16_e32 v58, v58, v76
	v_lshrrev_b32_e32 v64, 16, v51
	v_lshrrev_b32_e32 v76, 16, v53
	v_sub_f16_e32 v60, v67, v60
	v_add_f16_e32 v67, v55, v57
	v_fma_f16 v62, v63, 0xbb9c, -v62
	v_add_f16_e32 v63, v61, v56
	v_sub_f16_e32 v56, v61, v56
	v_fma_f16 v61, -0.5, v28, v59
	v_sub_f16_e32 v28, v69, v72
	v_sub_f16_e32 v79, v64, v76
	;; [unrolled: 1-line block ×4, first 2 shown]
	v_fma_f16 v67, -0.5, v67, v59
	v_sub_f16_e32 v82, v53, v57
	v_sub_f16_e32 v83, v51, v55
	v_add_f16_e32 v77, v75, v62
	v_sub_f16_e32 v62, v75, v62
	v_fmamk_f16 v75, v28, 0x3b9c, v61
	v_add_f16_e32 v80, v81, v80
	v_fmac_f16_e32 v61, 0xbb9c, v28
	v_fmamk_f16 v81, v79, 0xbb9c, v67
	v_add_f16_e32 v82, v83, v82
	v_add_f16_e32 v83, v64, v76
	v_lshrrev_b32_e32 v84, 16, v59
	v_pk_add_f16 v59, v59, v55
	v_fmac_f16_e32 v67, 0x3b9c, v79
	v_fmac_f16_e32 v75, 0x38b4, v79
	;; [unrolled: 1-line block ×4, first 2 shown]
	v_fma_f16 v83, -0.5, v83, v84
	v_sub_f16_e32 v55, v55, v57
	v_pk_add_f16 v59, v59, v51
	v_fmac_f16_e32 v67, 0xb8b4, v28
	v_add_f16_e32 v28, v69, v72
	v_fmac_f16_e32 v75, 0x34f2, v80
	v_fmac_f16_e32 v61, 0x34f2, v80
	v_fmamk_f16 v79, v55, 0xbb9c, v83
	v_sub_f16_e32 v51, v51, v53
	v_sub_f16_e32 v80, v69, v64
	v_sub_f16_e32 v85, v72, v76
	v_pk_add_f16 v53, v59, v53
	v_fmac_f16_e32 v83, 0x3b9c, v55
	v_fmac_f16_e32 v84, -0.5, v28
	v_fmac_f16_e32 v79, 0xb8b4, v51
	v_add_f16_e32 v59, v80, v85
	v_pk_add_f16 v53, v53, v57
	v_fmac_f16_e32 v83, 0x38b4, v51
	v_fmamk_f16 v57, v51, 0x3b9c, v84
	v_sub_f16_e32 v28, v64, v69
	v_sub_f16_e32 v64, v76, v72
	v_fmac_f16_e32 v84, 0xbb9c, v51
	v_fmac_f16_e32 v79, 0x34f2, v59
	;; [unrolled: 1-line block ×4, first 2 shown]
	v_add_f16_e32 v51, v9, v3
	v_add_f16_e32 v28, v28, v64
	v_fmac_f16_e32 v84, 0x38b4, v55
	v_lshrrev_b32_e32 v55, 16, v7
	v_lshrrev_b32_e32 v59, 16, v5
	;; [unrolled: 1-line block ×4, first 2 shown]
	v_add_f16_e32 v72, v7, v5
	v_fma_f16 v51, -0.5, v51, v1
	v_sub_f16_e32 v76, v55, v59
	v_fmac_f16_e32 v57, 0x34f2, v28
	v_fmac_f16_e32 v84, 0x34f2, v28
	v_sub_f16_e32 v28, v64, v69
	v_fma_f16 v72, -0.5, v72, v1
	v_fmac_f16_e32 v81, 0x34f2, v82
	v_fmac_f16_e32 v67, 0x34f2, v82
	v_fmamk_f16 v80, v76, 0x3b9c, v51
	v_sub_f16_e32 v82, v5, v3
	v_sub_f16_e32 v85, v7, v9
	v_fmac_f16_e32 v51, 0xbb9c, v76
	v_fmamk_f16 v86, v28, 0xbb9c, v72
	v_sub_f16_e32 v87, v3, v5
	v_sub_f16_e32 v88, v9, v7
	v_fmac_f16_e32 v72, 0x3b9c, v28
	v_fmac_f16_e32 v80, 0x38b4, v28
	v_add_f16_e32 v82, v85, v82
	v_fmac_f16_e32 v51, 0xb8b4, v28
	v_fmac_f16_e32 v86, 0x38b4, v76
	v_add_f16_e32 v85, v88, v87
	v_add_f16_e32 v28, v64, v69
	v_lshrrev_b32_e32 v87, 16, v1
	v_fmac_f16_e32 v72, 0xb8b4, v76
	v_add_f16_e32 v89, v55, v59
	v_fmac_f16_e32 v86, 0x34f2, v85
	v_pk_add_f16 v1, v1, v7
	v_fma_f16 v76, -0.5, v28, v87
	v_fmac_f16_e32 v72, 0x34f2, v85
	v_fmac_f16_e32 v87, -0.5, v89
	v_sub_f16_e32 v85, v9, v3
	v_fmac_f16_e32 v80, 0x34f2, v82
	v_fmac_f16_e32 v51, 0x34f2, v82
	v_sub_f16_e32 v28, v55, v64
	v_sub_f16_e32 v82, v59, v69
	;; [unrolled: 1-line block ×4, first 2 shown]
	v_pk_add_f16 v10, v10, v16
	v_pk_add_f16 v1, v1, v9
	v_sub_f16_e32 v9, v69, v59
	v_fmamk_f16 v16, v85, 0x3b9c, v87
	v_fmac_f16_e32 v87, 0xbb9c, v85
	v_add_f16_e32 v7, v28, v82
	v_fmamk_f16 v82, v88, 0xbb9c, v76
	v_fmac_f16_e32 v76, 0x3b9c, v88
	v_pk_add_f16 v1, v1, v3
	v_fmac_f16_e32 v16, 0xb8b4, v88
	v_add_f16_e32 v3, v55, v9
	v_fmac_f16_e32 v87, 0x38b4, v88
	v_fmac_f16_e32 v76, 0x38b4, v85
	;; [unrolled: 1-line block ×3, first 2 shown]
	v_mul_f16_e32 v59, 0x3a79, v51
	v_fmac_f16_e32 v16, 0x34f2, v3
	v_fmac_f16_e32 v87, 0x34f2, v3
	;; [unrolled: 1-line block ×4, first 2 shown]
	v_mul_f16_e32 v9, 0x3a79, v80
	v_pk_add_f16 v1, v1, v5
	v_mul_f16_e32 v5, 0xb8b4, v80
	v_lshl_add_u32 v28, v70, 2, 0
	v_mul_f16_e32 v3, 0x3b9c, v16
	v_mul_f16_e32 v55, 0x34f2, v72
	;; [unrolled: 1-line block ×4, first 2 shown]
	v_fma_f16 v59, v76, 0x38b4, -v59
	v_mul_f16_e32 v76, 0x3a79, v76
	v_fmac_f16_e32 v9, 0x38b4, v82
	v_fmac_f16_e32 v5, 0x3a79, v82
	;; [unrolled: 1-line block ×3, first 2 shown]
	v_fma_f16 v55, v87, 0x3b9c, -v55
	v_fmac_f16_e32 v69, 0x34f2, v16
	v_fma_f16 v70, v72, 0xbb9c, -v70
	v_fma_f16 v51, v51, 0xb8b4, -v76
	v_add_f16_e32 v7, v75, v9
	v_add_f16_e32 v80, v79, v5
	;; [unrolled: 1-line block ×5, first 2 shown]
	v_sub_f16_e32 v55, v67, v55
	v_add_f16_e32 v67, v57, v69
	v_sub_f16_e32 v59, v61, v59
	v_add_f16_e32 v61, v84, v70
	v_sub_f16_e32 v5, v79, v5
	v_add_f16_e32 v79, v83, v51
	v_sub_f16_e32 v9, v75, v9
	v_sub_f16_e32 v3, v81, v3
	;; [unrolled: 1-line block ×5, first 2 shown]
	v_mad_u32_u24 v64, v20, 36, v45
	v_pk_add_f16 v10, v10, v18
	v_pk_add_f16 v75, v53, v1
	v_pack_b32_f16 v7, v7, v80
	v_pack_b32_f16 v61, v72, v61
	;; [unrolled: 1-line block ×3, first 2 shown]
	v_pk_add_f16 v1, v53, v1 neg_lo:[0,1] neg_hi:[0,1]
	v_pack_b32_f16 v53, v76, v79
	v_pack_b32_f16 v5, v9, v5
	;; [unrolled: 1-line block ×5, first 2 shown]
	v_pk_add_f16 v27, v44, v47
	v_sub_f16_e32 v29, v43, v49
	v_pk_add_f16 v30, v36, v38 neg_lo:[0,1] neg_hi:[0,1]
	v_sub_f16_e32 v31, v48, v50
	v_pk_add_f16 v18, v54, v10
	global_wb scope:SCOPE_SE
	s_barrier_signal -1
	s_barrier_wait -1
	global_inv scope:SCOPE_SE
	ds_store_2addr_b32 v64, v75, v7 offset1:1
	ds_store_2addr_b32 v64, v16, v61 offset0:2 offset1:3
	ds_store_2addr_b32 v64, v53, v1 offset0:4 offset1:5
	;; [unrolled: 1-line block ×4, first 2 shown]
	v_pack_b32_f16 v1, v14, v65
	v_pack_b32_f16 v3, v73, v77
	;; [unrolled: 1-line block ×3, first 2 shown]
	v_pk_add_f16 v7, v54, v10 neg_lo:[0,1] neg_hi:[0,1]
	v_pack_b32_f16 v9, v63, v78
	v_pack_b32_f16 v10, v66, v52
	;; [unrolled: 1-line block ×5, first 2 shown]
	ds_store_2addr_b32 v28, v18, v1 offset1:1
	ds_store_2addr_b32 v28, v5, v3 offset0:2 offset1:3
	ds_store_2addr_b32 v28, v9, v7 offset0:4 offset1:5
	;; [unrolled: 1-line block ×4, first 2 shown]
	s_and_saveexec_b32 s1, s0
	s_cbranch_execz .LBB0_15
; %bb.14:
	v_pk_add_f16 v1, v13, v19
	v_pk_mul_f16 v3, 0x3b9c, v46 op_sel_hi:[0,1]
	v_pk_mul_f16 v10, 0x38b4, v42 op_sel_hi:[0,1]
	v_pk_add_f16 v9, v6, v4
	v_pk_add_f16 v12, v15, v13 neg_lo:[0,1] neg_hi:[0,1]
	v_pk_fma_f16 v1, v1, 0.5, v11 op_sel_hi:[1,0,1] neg_lo:[1,0,0] neg_hi:[1,0,0]
	v_pk_add_f16 v13, v17, v19 neg_lo:[0,1] neg_hi:[0,1]
	v_pk_add_f16 v6, v8, v6 neg_lo:[0,1] neg_hi:[0,1]
	v_pk_fma_f16 v0, v9, 0.5, v0 op_sel_hi:[1,0,1] neg_lo:[1,0,0] neg_hi:[1,0,0]
	v_pk_mul_f16 v9, 0x38b4, v37 op_sel_hi:[0,1]
	v_pk_add_f16 v11, v1, v3 op_sel:[0,1] op_sel_hi:[1,0] neg_lo:[0,1] neg_hi:[0,1]
	v_pk_add_f16 v1, v1, v3 op_sel:[0,1] op_sel_hi:[1,0]
	v_pk_mul_f16 v3, 0x3b9c, v40 op_sel_hi:[0,1]
	v_pk_add_f16 v8, v12, v13
	v_pk_add_f16 v2, v2, v4 neg_lo:[0,1] neg_hi:[0,1]
	v_pk_add_f16 v11, v11, v10 op_sel:[0,1] op_sel_hi:[1,0]
	v_pk_add_f16 v1, v1, v10 op_sel:[0,1] op_sel_hi:[1,0] neg_lo:[0,1] neg_hi:[0,1]
	v_pk_add_f16 v12, v0, v3 op_sel:[0,1] op_sel_hi:[1,0] neg_lo:[0,1] neg_hi:[0,1]
	v_pk_add_f16 v0, v0, v3 op_sel:[0,1] op_sel_hi:[1,0]
	v_pk_add_f16 v2, v6, v2
	v_add_f16_e32 v5, v48, v50
	v_bfi_b32 v10, 0xffff, v11, v1
	v_bfi_b32 v1, 0xffff, v1, v11
	v_pk_add_f16 v4, v12, v9 op_sel:[0,1] op_sel_hi:[1,0]
	v_pk_add_f16 v0, v0, v9 op_sel:[0,1] op_sel_hi:[1,0] neg_lo:[0,1] neg_hi:[0,1]
	v_add_f16_e32 v7, v43, v49
	v_pk_fma_f16 v3, 0x34f2, v8, v10 op_sel_hi:[0,1,1]
	v_pk_fma_f16 v1, 0x34f2, v8, v1 op_sel_hi:[0,1,1]
	v_mul_i32_i24_e32 v9, 10, v26
	v_bfi_b32 v6, 0xffff, v4, v0
	v_bfi_b32 v0, 0xffff, v0, v4
	v_pk_mul_f16 v8, 0x3b9c, v3 op_sel_hi:[0,1]
	v_pk_mul_f16 v4, 0x34f2, v1 op_sel_hi:[0,1]
	v_pack_b32_f16 v5, v7, v5
	v_pk_fma_f16 v6, 0x34f2, v2, v6 op_sel_hi:[0,1,1]
	v_pk_fma_f16 v0, 0x34f2, v2, v0 op_sel_hi:[0,1,1]
	v_pk_fma_f16 v10, 0x34f2, v3, v8 op_sel:[0,0,1] op_sel_hi:[0,1,0]
	v_pk_fma_f16 v3, 0x34f2, v3, v8 op_sel:[0,0,1] op_sel_hi:[0,1,0] neg_lo:[0,0,1] neg_hi:[0,0,1]
	v_pk_fma_f16 v1, 0x3b9cbb9c, v1, v4 op_sel:[0,0,1] op_sel_hi:[1,1,0] neg_lo:[0,0,1] neg_hi:[0,0,1]
	v_pk_add_f16 v8, v36, v38
	v_lshl_add_u32 v4, v9, 2, 0
	s_delay_alu instid0(VALU_DEP_4) | instskip(NEXT) | instid1(VALU_DEP_4)
	v_bfi_b32 v2, 0xffff, v10, v3
	v_pk_add_f16 v7, v0, v1 op_sel:[0,1] op_sel_hi:[1,0]
	v_perm_b32 v3, v31, v29, 0x5040100
	v_pk_add_f16 v10, v44, v47 neg_lo:[0,1] neg_hi:[0,1]
	v_pk_add_f16 v0, v0, v1 op_sel:[0,1] op_sel_hi:[1,0] neg_lo:[0,1] neg_hi:[0,1]
	v_pk_add_f16 v9, v6, v2
	v_pk_add_f16 v2, v6, v2 neg_lo:[0,1] neg_hi:[0,1]
	ds_store_2addr_b32 v4, v8, v5 offset1:1
	ds_store_2addr_b32 v4, v9, v7 offset0:2 offset1:3
	ds_store_2addr_b32 v4, v27, v30 offset0:4 offset1:5
	ds_store_2addr_b32 v4, v3, v2 offset0:6 offset1:7
	ds_store_2addr_b32 v4, v0, v10 offset0:8 offset1:9
.LBB0_15:
	s_wait_alu 0xfffe
	s_or_b32 exec_lo, exec_lo, s1
	v_mad_i32_i24 v2, 0xffffffdc, v24, v28
	v_lshl_add_u32 v46, v26, 2, 0
	v_add_nc_u32_e32 v3, 0xe00, v45
	v_add_nc_u32_e32 v8, 0x1a00, v45
	global_wb scope:SCOPE_SE
	s_wait_dscnt 0x0
	s_barrier_signal -1
	s_barrier_wait -1
	global_inv scope:SCOPE_SE
	ds_load_2addr_b32 v[0:1], v33 offset0:118 offset1:238
	ds_load_2addr_b32 v[6:7], v41 offset0:100 offset1:220
	;; [unrolled: 1-line block ×4, first 2 shown]
	ds_load_b32 v42, v45 offset:8520
	ds_load_b32 v37, v45
	ds_load_b32 v39, v2
	ds_load_b32 v38, v46
	ds_load_2addr_b32 v[4:5], v21 offset0:14 offset1:104
	ds_load_2addr_b32 v[14:15], v3 offset0:124 offset1:214
	;; [unrolled: 1-line block ×6, first 2 shown]
	v_cmp_gt_u32_e64 s1, 30, v20
	v_lshrrev_b32_e32 v36, 16, v27
	s_delay_alu instid0(VALU_DEP_2)
	s_and_saveexec_b32 s2, s1
	s_cbranch_execz .LBB0_17
; %bb.16:
	ds_load_b32 v27, v45 offset:2880
	ds_load_b32 v29, v45 offset:8880
	;; [unrolled: 1-line block ×3, first 2 shown]
	s_wait_dscnt 0x2
	v_lshrrev_b32_e32 v36, 16, v27
	s_wait_dscnt 0x1
	v_lshrrev_b32_e32 v31, 16, v29
.LBB0_17:
	s_wait_alu 0xfffe
	s_or_b32 exec_lo, exec_lo, s2
	v_add_nc_u32_e32 v25, 0x10e, v20
	v_and_b32_e32 v35, 0xff, v24
	v_and_b32_e32 v32, 0xffff, v26
	v_add_nc_u32_e32 v21, 0x168, v20
	v_add_nc_u32_e32 v49, 0x1c2, v20
	v_and_b32_e32 v33, 0xffff, v25
	v_mul_lo_u16 v40, 0xcd, v35
	v_mul_u32_u24_e32 v43, 0xcccd, v32
	v_and_b32_e32 v34, 0xffff, v21
	v_add_nc_u32_e32 v50, 0x21c, v20
	v_mul_u32_u24_e32 v44, 0xcccd, v33
	v_lshrrev_b16 v72, 11, v40
	v_lshrrev_b32_e32 v73, 19, v43
	v_mul_u32_u24_e32 v43, 0xcccd, v34
	v_and_b32_e32 v40, 0xffff, v49
	v_lshrrev_b32_e32 v74, 19, v44
	v_mul_lo_u16 v44, v72, 10
	v_mul_lo_u16 v47, v73, 10
	v_lshrrev_b32_e32 v75, 19, v43
	v_and_b32_e32 v41, 0xff, v20
	v_mul_lo_u16 v48, v74, 10
	v_sub_nc_u16 v43, v24, v44
	v_sub_nc_u16 v44, v26, v47
	v_and_b32_e32 v52, 0xffff, v50
	v_mul_u32_u24_e32 v40, 0xcccd, v40
	v_sub_nc_u16 v47, v25, v48
	v_and_b32_e32 v76, 0xff, v43
	v_mul_lo_u16 v48, v75, 10
	v_and_b32_e32 v77, 0xffff, v44
	v_add_nc_u32_e32 v51, 0x276, v20
	v_and_b32_e32 v78, 0xffff, v47
	v_lshlrev_b32_e32 v47, 3, v76
	v_sub_nc_u16 v44, v21, v48
	v_lshlrev_b32_e32 v48, 3, v77
	v_mul_u32_u24_e32 v43, 0xcccd, v52
	v_lshlrev_b32_e32 v56, 3, v78
	v_lshrrev_b32_e32 v79, 19, v40
	v_mul_lo_u16 v40, 0xcd, v41
	s_clause 0x2
	global_load_b64 v[52:53], v47, s[4:5]
	global_load_b64 v[54:55], v48, s[4:5]
	;; [unrolled: 1-line block ×3, first 2 shown]
	v_add_nc_u32_e32 v48, 0x2d0, v20
	v_and_b32_e32 v47, 0xffff, v51
	v_lshrrev_b32_e32 v81, 19, v43
	v_lshrrev_b16 v82, 11, v40
	v_mul_lo_u16 v43, v79, 10
	v_and_b32_e32 v40, 0xffff, v48
	v_mul_u32_u24_e32 v47, 0xcccd, v47
	v_mul_lo_u16 v56, v81, 10
	v_mul_lo_u16 v57, v82, 10
	v_sub_nc_u16 v60, v49, v43
	v_mul_u32_u24_e32 v40, 0xcccd, v40
	v_lshrrev_b32_e32 v83, 19, v47
	v_sub_nc_u16 v47, v50, v56
	v_sub_nc_u16 v56, v20, v57
	v_and_b32_e32 v80, 0xffff, v44
	v_lshrrev_b32_e32 v43, 19, v40
	v_mul_lo_u16 v40, v83, 10
	v_and_b32_e32 v85, 0xffff, v47
	v_and_b32_e32 v84, 0xffff, v60
	v_and_b32_e32 v86, 0xff, v56
	v_mul_lo_u16 v47, v43, 10
	v_sub_nc_u16 v40, v51, v40
	v_lshlrev_b32_e32 v44, 3, v80
	v_lshlrev_b32_e32 v56, 3, v84
	;; [unrolled: 1-line block ×3, first 2 shown]
	v_sub_nc_u16 v47, v48, v47
	v_and_b32_e32 v87, 0xffff, v40
	v_lshlrev_b32_e32 v57, 3, v85
	s_clause 0x2
	global_load_b64 v[60:61], v44, s[4:5]
	global_load_b64 v[62:63], v56, s[4:5]
	;; [unrolled: 1-line block ×3, first 2 shown]
	v_and_b32_e32 v44, 0xffff, v47
	global_load_b64 v[66:67], v66, s[4:5]
	v_lshlrev_b32_e32 v40, 3, v87
	v_and_b32_e32 v72, 0xffff, v72
	v_mul_u32_u24_e32 v73, 0x78, v73
	v_lshlrev_b32_e32 v47, 3, v44
	s_clause 0x1
	global_load_b64 v[68:69], v40, s[4:5]
	global_load_b64 v[70:71], v47, s[4:5]
	v_mul_u32_u24_e32 v72, 0x78, v72
	v_lshlrev_b32_e32 v76, 2, v76
	v_lshlrev_b32_e32 v77, 2, v77
	v_and_b32_e32 v82, 0xffff, v82
	v_mul_u32_u24_e32 v74, 0x78, v74
	v_mul_u32_u24_e32 v75, 0x78, v75
	;; [unrolled: 1-line block ×5, first 2 shown]
	v_lshlrev_b32_e32 v78, 2, v78
	v_add3_u32 v72, 0, v72, v76
	v_add3_u32 v73, 0, v73, v77
	v_lshlrev_b32_e32 v76, 2, v80
	v_lshlrev_b32_e32 v77, 2, v84
	;; [unrolled: 1-line block ×4, first 2 shown]
	s_wait_dscnt 0xb
	v_lshrrev_b32_e32 v90, 16, v19
	s_wait_dscnt 0xa
	v_lshrrev_b32_e32 v91, 16, v17
	v_mul_u32_u24_e32 v82, 0x78, v82
	v_lshlrev_b32_e32 v86, 2, v86
	v_add3_u32 v74, 0, v74, v78
	v_add3_u32 v75, 0, v75, v76
	;; [unrolled: 1-line block ×5, first 2 shown]
	v_lshrrev_b32_e32 v88, 16, v18
	v_lshrrev_b32_e32 v89, 16, v16
	s_wait_dscnt 0x3
	v_lshrrev_b32_e32 v92, 16, v12
	v_lshrrev_b32_e32 v95, 16, v14
	v_add3_u32 v82, 0, v82, v86
	v_lshrrev_b32_e32 v93, 16, v15
	v_lshrrev_b32_e32 v94, 16, v13
	;; [unrolled: 1-line block ×4, first 2 shown]
	s_wait_dscnt 0x1
	v_lshrrev_b32_e32 v96, 16, v8
	s_wait_dscnt 0x0
	v_lshrrev_b32_e32 v97, 16, v10
	v_lshrrev_b32_e32 v98, 16, v9
	;; [unrolled: 1-line block ×14, first 2 shown]
	v_mul_i32_i24_e32 v40, 0xffffffdc, v24
	global_wb scope:SCOPE_SE
	s_wait_loadcnt 0x0
	s_barrier_signal -1
	s_barrier_wait -1
	global_inv scope:SCOPE_SE
	v_lshrrev_b32_e32 v79, 16, v52
	v_lshrrev_b32_e32 v80, 16, v53
	;; [unrolled: 1-line block ×5, first 2 shown]
	v_mul_f16_e32 v84, v79, v18
	v_mul_f16_e32 v85, v80, v16
	;; [unrolled: 1-line block ×6, first 2 shown]
	v_lshrrev_b32_e32 v111, 16, v59
	v_mul_f16_e32 v79, v79, v88
	v_mul_f16_e32 v80, v80, v89
	v_fmac_f16_e32 v84, v52, v88
	v_fmac_f16_e32 v85, v53, v89
	v_fma_f16 v19, v54, v19, -v86
	v_fma_f16 v17, v55, v17, -v87
	v_fmac_f16_e32 v81, v54, v90
	v_fmac_f16_e32 v83, v55, v91
	v_mul_f16_e32 v54, v110, v14
	v_mul_f16_e32 v55, v12, v111
	;; [unrolled: 1-line block ×4, first 2 shown]
	v_fma_f16 v18, v52, v18, -v79
	v_fma_f16 v16, v53, v16, -v80
	v_fmac_f16_e32 v54, v58, v95
	v_fmac_f16_e32 v55, v92, v59
	v_fma_f16 v14, v58, v14, -v86
	v_fma_f16 v58, v12, v59, -v87
	v_lshrrev_b32_e32 v112, 16, v60
	v_lshrrev_b32_e32 v113, 16, v61
	;; [unrolled: 1-line block ×8, first 2 shown]
	v_mul_f16_e32 v90, v93, v112
	v_mul_f16_e32 v91, v15, v112
	;; [unrolled: 1-line block ×4, first 2 shown]
	v_lshrrev_b32_e32 v52, 16, v68
	v_lshrrev_b32_e32 v53, 16, v69
	;; [unrolled: 1-line block ×4, first 2 shown]
	v_mul_f16_e32 v86, v88, v107
	v_mul_f16_e32 v87, v89, v7
	;; [unrolled: 1-line block ×12, first 2 shown]
	v_fma_f16 v15, v15, v60, -v90
	v_mul_f16_e32 v89, v105, v52
	v_mul_f16_e32 v52, v6, v52
	v_mul_f16_e32 v90, v106, v53
	v_mul_f16_e32 v53, v42, v53
	v_fma_f16 v110, v13, v61, -v110
	v_mul_f16_e32 v118, v109, v79
	v_mul_f16_e32 v13, v30, v79
	;; [unrolled: 1-line block ×4, first 2 shown]
	v_fmac_f16_e32 v91, v93, v60
	v_fmac_f16_e32 v59, v66, v107
	v_fma_f16 v60, v66, v1, -v86
	v_fmac_f16_e32 v87, v67, v108
	v_fma_f16 v7, v67, v7, -v88
	v_fmac_f16_e32 v111, v94, v61
	v_fmac_f16_e32 v112, v96, v62
	;; [unrolled: 1-line block ×3, first 2 shown]
	v_fma_f16 v8, v8, v62, -v114
	v_fma_f16 v10, v10, v63, -v115
	;; [unrolled: 1-line block ×4, first 2 shown]
	v_fmac_f16_e32 v116, v98, v64
	v_fmac_f16_e32 v117, v99, v65
	v_fma_f16 v61, v6, v68, -v89
	v_fmac_f16_e32 v52, v105, v68
	v_fma_f16 v42, v42, v69, -v90
	;; [unrolled: 2-line block ×4, first 2 shown]
	v_fmac_f16_e32 v12, v31, v71
	v_add_f16_e32 v29, v39, v18
	v_add_f16_e32 v30, v18, v16
	;; [unrolled: 1-line block ×9, first 2 shown]
	v_sub_f16_e32 v71, v59, v87
	v_add_f16_e32 v79, v47, v59
	v_add_f16_e32 v59, v59, v87
	v_sub_f16_e32 v31, v84, v85
	v_sub_f16_e32 v18, v18, v16
	;; [unrolled: 1-line block ×4, first 2 shown]
	v_add_f16_e32 v69, v37, v60
	v_sub_f16_e32 v60, v60, v7
	v_add_f16_e32 v16, v29, v16
	v_fmac_f16_e32 v39, -0.5, v30
	v_add_f16_e32 v29, v62, v85
	v_fmac_f16_e32 v57, -0.5, v63
	v_add_f16_e32 v17, v64, v17
	v_fmac_f16_e32 v38, -0.5, v65
	v_add_f16_e32 v30, v67, v83
	v_fmac_f16_e32 v56, -0.5, v68
	v_add_f16_e32 v63, v14, v58
	v_sub_f16_e32 v64, v54, v55
	v_add_f16_e32 v65, v100, v54
	v_add_f16_e32 v54, v54, v55
	;; [unrolled: 1-line block ×3, first 2 shown]
	v_sub_f16_e32 v80, v91, v111
	v_add_f16_e32 v81, v101, v91
	v_add_f16_e32 v83, v91, v111
	;; [unrolled: 1-line block ×7, first 2 shown]
	v_sub_f16_e32 v97, v52, v53
	v_add_f16_e32 v98, v104, v52
	v_add_f16_e32 v52, v52, v53
	;; [unrolled: 1-line block ×4, first 2 shown]
	v_fmac_f16_e32 v37, -0.5, v70
	v_fmac_f16_e32 v47, -0.5, v59
	v_add_f16_e32 v62, v4, v14
	v_sub_f16_e32 v14, v14, v58
	v_add_f16_e32 v67, v5, v15
	v_sub_f16_e32 v15, v15, v110
	;; [unrolled: 2-line block ×7, first 2 shown]
	v_sub_f16_e32 v105, v13, v12
	v_sub_f16_e32 v107, v6, v1
	v_add_f16_e32 v7, v69, v7
	v_add_f16_e32 v69, v79, v87
	v_fmac_f16_e32 v100, -0.5, v54
	v_fmac_f16_e32 v5, -0.5, v68
	;; [unrolled: 1-line block ×6, first 2 shown]
	v_fma_f16 v4, -0.5, v63, v4
	v_fma_f16 v2, -0.5, v85, v2
	v_fmac_f16_e32 v0, -0.5, v96
	v_add_f16_e32 v63, v98, v53
	v_fmac_f16_e32 v104, -0.5, v52
	v_fma_f16 v52, -0.5, v99, v27
	v_fma_f16 v53, -0.5, v106, v36
	v_pack_b32_f16 v16, v16, v29
	v_pack_b32_f16 v17, v17, v30
	v_fmamk_f16 v29, v71, 0x3aee, v37
	v_fmamk_f16 v30, v60, 0xbaee, v47
	v_fmac_f16_e32 v37, 0xbaee, v71
	v_fmac_f16_e32 v47, 0x3aee, v60
	v_fmamk_f16 v59, v31, 0x3aee, v39
	v_fmac_f16_e32 v39, 0xbaee, v31
	v_fmamk_f16 v31, v18, 0xbaee, v57
	;; [unrolled: 2-line block ×4, first 2 shown]
	v_fmac_f16_e32 v56, 0x3aee, v19
	v_add_f16_e32 v19, v62, v58
	v_add_f16_e32 v58, v65, v55
	v_add_f16_e32 v62, v67, v110
	v_add_f16_e32 v65, v81, v111
	v_add_f16_e32 v10, v84, v10
	v_add_f16_e32 v67, v88, v113
	v_add_f16_e32 v11, v90, v11
	v_add_f16_e32 v68, v93, v117
	v_add_f16_e32 v42, v95, v42
	v_pack_b32_f16 v7, v7, v69
	v_fmamk_f16 v60, v64, 0x3aee, v4
	v_fmac_f16_e32 v4, 0xbaee, v64
	v_fmamk_f16 v64, v14, 0xbaee, v100
	v_fmac_f16_e32 v100, 0x3aee, v14
	v_fmamk_f16 v14, v80, 0x3aee, v5
	v_fmac_f16_e32 v5, 0xbaee, v80
	v_fmamk_f16 v69, v15, 0xbaee, v101
	v_fmac_f16_e32 v101, 0x3aee, v15
	v_fmamk_f16 v15, v86, 0x3aee, v2
	v_fmac_f16_e32 v2, 0xbaee, v86
	v_fmamk_f16 v70, v8, 0xbaee, v102
	v_fmac_f16_e32 v102, 0x3aee, v8
	v_fmamk_f16 v8, v92, 0x3aee, v3
	v_fmac_f16_e32 v3, 0xbaee, v92
	v_fmamk_f16 v71, v9, 0xbaee, v103
	v_fmac_f16_e32 v103, 0x3aee, v9
	v_fmamk_f16 v9, v97, 0x3aee, v0
	v_fmac_f16_e32 v0, 0xbaee, v97
	v_fmamk_f16 v79, v61, 0xbaee, v104
	v_fmac_f16_e32 v104, 0x3aee, v61
	v_fmamk_f16 v54, v105, 0x3aee, v52
	v_fmac_f16_e32 v52, 0xbaee, v105
	v_fmamk_f16 v55, v107, 0xbaee, v53
	v_fmac_f16_e32 v53, 0x3aee, v107
	v_pack_b32_f16 v29, v29, v30
	v_pack_b32_f16 v30, v37, v47
	;; [unrolled: 1-line block ×21, first 2 shown]
	ds_store_2addr_b32 v82, v7, v29 offset1:10
	ds_store_b32 v82, v30 offset:80
	ds_store_2addr_b32 v72, v16, v31 offset1:10
	ds_store_b32 v72, v39 offset:80
	;; [unrolled: 2-line block ×8, first 2 shown]
	s_and_saveexec_b32 s2, s1
	s_cbranch_execz .LBB0_19
; %bb.18:
	v_mul_lo_u16 v0, v43, 30
	v_add_f16_e32 v2, v36, v13
	v_add_f16_e32 v3, v27, v6
	v_lshlrev_b32_e32 v4, 2, v44
	s_delay_alu instid0(VALU_DEP_4) | instskip(NEXT) | instid1(VALU_DEP_4)
	v_and_b32_e32 v0, 0xffff, v0
	v_add_f16_e32 v2, v2, v12
	s_delay_alu instid0(VALU_DEP_4) | instskip(SKIP_1) | instid1(VALU_DEP_4)
	v_add_f16_e32 v1, v3, v1
	v_perm_b32 v3, v55, v54, 0x5040100
	v_lshlrev_b32_e32 v0, 2, v0
	s_delay_alu instid0(VALU_DEP_3) | instskip(SKIP_1) | instid1(VALU_DEP_3)
	v_pack_b32_f16 v1, v1, v2
	v_perm_b32 v2, v53, v52, 0x5040100
	v_add3_u32 v0, 0, v4, v0
	ds_store_2addr_b32 v0, v1, v3 offset1:10
	ds_store_b32 v0, v2 offset:80
.LBB0_19:
	s_wait_alu 0xfffe
	s_or_b32 exec_lo, exec_lo, s2
	v_mul_lo_u16 v0, 0x89, v41
	v_mul_lo_u16 v1, 0x89, v35
	v_mul_u32_u24_e32 v2, 0x8889, v33
	v_mul_u32_u24_e32 v3, 0x8889, v34
	global_wb scope:SCOPE_SE
	s_wait_dscnt 0x0
	v_lshrrev_b16 v57, 12, v0
	v_mul_u32_u24_e32 v0, 0x8889, v32
	v_lshrrev_b16 v58, 12, v1
	v_lshrrev_b32_e32 v59, 20, v2
	v_lshrrev_b32_e32 v65, 20, v3
	v_mul_lo_u16 v1, v57, 30
	v_lshrrev_b32_e32 v62, 20, v0
	v_mul_lo_u16 v0, v58, 30
	s_barrier_signal -1
	s_barrier_wait -1
	v_sub_nc_u16 v1, v20, v1
	v_mul_lo_u16 v2, v62, 30
	v_sub_nc_u16 v0, v24, v0
	global_inv scope:SCOPE_SE
	v_add_nc_u32_e32 v63, 0x1400, v45
	v_and_b32_e32 v68, 0xff, v1
	v_mul_lo_u16 v1, v59, 30
	v_sub_nc_u16 v2, v26, v2
	v_and_b32_e32 v71, 0xff, v0
	v_add_nc_u32_e32 v60, 0x1a00, v45
	v_lshlrev_b32_e32 v0, 4, v68
	v_sub_nc_u16 v1, v25, v1
	v_and_b32_e32 v72, 0xffff, v2
	v_lshlrev_b32_e32 v2, 4, v71
	v_add_nc_u32_e32 v66, 0xc00, v45
	global_load_b128 v[16:19], v0, s[4:5] offset:80
	v_and_b32_e32 v74, 0xffff, v1
	v_mul_lo_u16 v1, v65, 30
	global_load_b128 v[12:15], v2, s[4:5] offset:80
	v_lshlrev_b32_e32 v0, 4, v72
	v_add_nc_u32_e32 v47, v28, v40
	v_lshlrev_b32_e32 v2, 4, v74
	v_add_nc_u32_e32 v64, 0x1c00, v45
	v_add_nc_u32_e32 v56, 0x600, v45
	global_load_b128 v[8:11], v0, s[4:5] offset:80
	v_add_nc_u32_e32 v67, 0x800, v45
	global_load_b128 v[4:7], v2, s[4:5] offset:80
	v_sub_nc_u16 v0, v21, v1
	v_add_nc_u32_e32 v61, 0xe00, v45
	ds_load_b32 v69, v45
	v_add_nc_u32_e32 v33, 0x1600, v45
	v_add_nc_u32_e32 v43, 0x1000, v45
	v_and_b32_e32 v73, 0xffff, v0
	v_add_nc_u32_e32 v44, 0x2000, v45
	v_add_nc_u32_e32 v75, 0x400, v45
	s_delay_alu instid0(VALU_DEP_3)
	v_lshlrev_b32_e32 v0, 4, v73
	global_load_b128 v[0:3], v0, s[4:5] offset:80
	ds_load_2addr_b32 v[39:40], v63 offset0:70 offset1:160
	ds_load_2addr_b32 v[27:28], v60 offset0:46 offset1:136
	ds_load_b32 v70, v47
	ds_load_2addr_b32 v[41:42], v56 offset0:66 offset1:156
	ds_load_2addr_b32 v[35:36], v61 offset0:94 offset1:184
	;; [unrolled: 1-line block ×8, first 2 shown]
	ds_load_b32 v76, v46
	ds_load_2addr_b32 v[43:44], v75 offset0:14 offset1:104
	global_wb scope:SCOPE_SE
	s_wait_loadcnt_dscnt 0x0
	s_barrier_signal -1
	v_lshrrev_b32_e32 v79, 16, v69
	s_barrier_wait -1
	global_inv scope:SCOPE_SE
	v_lshrrev_b32_e32 v85, 16, v39
	v_lshrrev_b32_e32 v86, 16, v28
	;; [unrolled: 1-line block ×29, first 2 shown]
	v_mul_f16_e32 v119, v105, v41
	v_mul_f16_e32 v122, v106, v30
	;; [unrolled: 1-line block ×4, first 2 shown]
	v_lshrrev_b32_e32 v111, 16, v13
	v_lshrrev_b32_e32 v112, 16, v15
	;; [unrolled: 1-line block ×6, first 2 shown]
	v_fmac_f16_e32 v119, v16, v90
	v_mul_f16_e32 v90, v39, v107
	v_fmac_f16_e32 v122, v17, v91
	v_mul_f16_e32 v91, v28, v108
	v_mul_f16_e32 v107, v85, v107
	;; [unrolled: 1-line block ×3, first 2 shown]
	v_fma_f16 v16, v16, v41, -v105
	v_fma_f16 v17, v17, v30, -v106
	v_mul_f16_e32 v30, v87, v109
	v_mul_f16_e32 v41, v42, v109
	;; [unrolled: 1-line block ×3, first 2 shown]
	v_lshrrev_b32_e32 v117, 16, v4
	v_lshrrev_b32_e32 v118, 16, v6
	v_lshrrev_b32_e32 v120, 16, v5
	v_lshrrev_b32_e32 v121, 16, v7
	v_fmac_f16_e32 v90, v85, v18
	v_lshrrev_b32_e32 v85, 16, v0
	v_fmac_f16_e32 v91, v86, v19
	v_lshrrev_b32_e32 v86, 16, v1
	v_fma_f16 v18, v39, v18, -v107
	v_fma_f16 v19, v28, v19, -v108
	v_lshrrev_b32_e32 v28, 16, v2
	v_lshrrev_b32_e32 v39, 16, v3
	v_mul_f16_e32 v106, v40, v110
	v_fma_f16 v30, v42, v12, -v30
	v_mul_f16_e32 v42, v35, v111
	v_mul_f16_e32 v107, v88, v111
	;; [unrolled: 1-line block ×4, first 2 shown]
	v_fma_f16 v40, v40, v14, -v105
	v_mul_f16_e32 v105, v94, v113
	v_mul_f16_e32 v110, v36, v113
	;; [unrolled: 1-line block ×3, first 2 shown]
	v_fmac_f16_e32 v41, v87, v12
	v_mul_f16_e32 v12, v31, v115
	v_mul_f16_e32 v112, v93, v115
	;; [unrolled: 1-line block ×4, first 2 shown]
	v_fmac_f16_e32 v42, v88, v13
	v_mul_f16_e32 v88, v33, v116
	v_fmac_f16_e32 v106, v89, v14
	v_mul_f16_e32 v14, v97, v117
	v_mul_f16_e32 v89, v32, v117
	v_fmac_f16_e32 v108, v92, v15
	v_mul_f16_e32 v92, v99, v118
	v_mul_f16_e32 v114, v34, v118
	v_fma_f16 v13, v35, v13, -v107
	v_fma_f16 v15, v37, v15, -v109
	v_mul_f16_e32 v35, v81, v120
	v_mul_f16_e32 v37, v98, v120
	;; [unrolled: 1-line block ×8, first 2 shown]
	v_fma_f16 v36, v36, v9, -v105
	v_mul_f16_e32 v105, v103, v28
	v_mul_f16_e32 v28, v27, v28
	;; [unrolled: 1-line block ×4, first 2 shown]
	v_fma_f16 v38, v38, v11, -v111
	v_fmac_f16_e32 v12, v93, v8
	v_fmac_f16_e32 v110, v94, v9
	v_fma_f16 v8, v31, v8, -v112
	v_fma_f16 v9, v33, v10, -v113
	v_fmac_f16_e32 v88, v96, v10
	v_fmac_f16_e32 v87, v95, v11
	v_fma_f16 v10, v32, v4, -v14
	v_fma_f16 v11, v34, v6, -v92
	v_fmac_f16_e32 v89, v97, v4
	v_fmac_f16_e32 v35, v98, v5
	;; [unrolled: 1-line block ×4, first 2 shown]
	v_fma_f16 v4, v81, v5, -v37
	v_fma_f16 v5, v83, v7, -v109
	;; [unrolled: 1-line block ×3, first 2 shown]
	v_fmac_f16_e32 v85, v101, v0
	v_fma_f16 v0, v82, v1, -v116
	v_fmac_f16_e32 v86, v102, v1
	v_fma_f16 v1, v27, v2, -v105
	;; [unrolled: 2-line block ×3, first 2 shown]
	v_fmac_f16_e32 v39, v104, v3
	v_add_f16_e32 v3, v69, v16
	v_add_f16_e32 v7, v17, v18
	v_sub_f16_e32 v14, v16, v17
	v_sub_f16_e32 v27, v19, v18
	v_add_f16_e32 v29, v16, v19
	v_sub_f16_e32 v109, v8, v36
	v_sub_f16_e32 v111, v38, v9
	v_add_f16_e32 v115, v76, v8
	v_add_f16_e32 v33, v79, v119
	;; [unrolled: 1-line block ×3, first 2 shown]
	v_sub_f16_e32 v37, v119, v122
	v_add_f16_e32 v82, v119, v91
	v_sub_f16_e32 v83, v122, v119
	v_add_f16_e32 v92, v13, v40
	v_sub_f16_e32 v93, v30, v13
	v_sub_f16_e32 v94, v15, v40
	v_add_f16_e32 v95, v30, v15
	v_sub_f16_e32 v97, v13, v30
	v_sub_f16_e32 v98, v40, v15
	;; [unrolled: 1-line block ×4, first 2 shown]
	v_add_f16_e32 v112, v36, v9
	v_sub_f16_e32 v116, v36, v8
	v_sub_f16_e32 v117, v9, v38
	v_add_f16_e32 v121, v110, v88
	v_add_f16_e32 v14, v14, v27
	;; [unrolled: 1-line block ×3, first 2 shown]
	v_fma_f16 v7, -0.5, v7, v69
	v_fmac_f16_e32 v69, -0.5, v29
	v_add_f16_e32 v29, v77, v12
	v_add_f16_e32 v109, v109, v111
	v_sub_f16_e32 v111, v36, v9
	v_sub_f16_e32 v119, v119, v91
	v_add_f16_e32 v3, v3, v17
	v_add_f16_e32 v36, v115, v36
	v_sub_f16_e32 v81, v91, v90
	v_add_f16_e32 v96, v70, v30
	v_add_f16_e32 v101, v42, v106
	;; [unrolled: 1-line block ×4, first 2 shown]
	v_sub_f16_e32 v104, v42, v41
	v_sub_f16_e32 v105, v106, v108
	v_add_f16_e32 v113, v8, v38
	v_sub_f16_e32 v118, v12, v110
	v_sub_f16_e32 v120, v87, v88
	v_fma_f16 v34, -0.5, v34, v79
	v_fmac_f16_e32 v79, -0.5, v82
	v_add_f16_e32 v93, v93, v94
	v_sub_f16_e32 v94, v4, v10
	v_fma_f16 v92, -0.5, v92, v70
	v_fmac_f16_e32 v70, -0.5, v95
	v_sub_f16_e32 v95, v11, v5
	v_add_f16_e32 v97, v97, v98
	v_sub_f16_e32 v98, v17, v18
	v_add_f16_e32 v99, v99, v100
	;; [unrolled: 2-line block ×3, first 2 shown]
	v_add_f16_e32 v117, v43, v10
	v_fma_f16 v121, -0.5, v121, v77
	v_fmac_f16_e32 v77, -0.5, v27
	v_add_f16_e32 v29, v29, v110
	v_add_f16_e32 v3, v3, v18
	;; [unrolled: 1-line block ×3, first 2 shown]
	v_fmamk_f16 v36, v119, 0x3b9c, v7
	v_fmac_f16_e32 v7, 0xbb9c, v119
	v_sub_f16_e32 v31, v17, v16
	v_sub_f16_e32 v32, v18, v19
	;; [unrolled: 1-line block ×3, first 2 shown]
	v_add_f16_e32 v37, v37, v81
	v_sub_f16_e32 v81, v88, v87
	v_fma_f16 v101, -0.5, v101, v78
	v_fmac_f16_e32 v78, -0.5, v102
	v_sub_f16_e32 v102, v13, v40
	v_add_f16_e32 v104, v104, v105
	v_sub_f16_e32 v105, v42, v106
	v_fma_f16 v112, -0.5, v112, v76
	v_fmac_f16_e32 v76, -0.5, v113
	v_sub_f16_e32 v113, v110, v88
	v_sub_f16_e32 v16, v16, v19
	;; [unrolled: 1-line block ×3, first 2 shown]
	v_add_f16_e32 v118, v118, v120
	v_add_f16_e32 v120, v10, v5
	;; [unrolled: 1-line block ×10, first 2 shown]
	v_fmamk_f16 v88, v98, 0x3b9c, v79
	v_fmac_f16_e32 v79, 0xbb9c, v98
	v_add_f16_e32 v3, v3, v19
	v_fmamk_f16 v19, v111, 0x3b9c, v77
	v_fmac_f16_e32 v77, 0xbb9c, v111
	v_fmac_f16_e32 v36, 0x38b4, v100
	;; [unrolled: 1-line block ×3, first 2 shown]
	v_sub_f16_e32 v82, v10, v4
	v_add_f16_e32 v83, v83, v84
	v_sub_f16_e32 v84, v5, v11
	v_sub_f16_e32 v10, v10, v5
	v_add_f16_e32 v17, v80, v89
	v_fma_f16 v27, -0.5, v27, v43
	v_fma_f16 v43, -0.5, v120, v43
	v_add_f16_e32 v18, v33, v90
	v_add_f16_e32 v33, v42, v106
	v_fmamk_f16 v42, v16, 0xbb9c, v34
	v_fmac_f16_e32 v34, 0x3b9c, v16
	v_fmamk_f16 v120, v8, 0xbb9c, v121
	v_fmac_f16_e32 v121, 0x3b9c, v8
	v_add_f16_e32 v96, v96, v11
	v_fmac_f16_e32 v88, 0xb8b4, v16
	v_fmac_f16_e32 v79, 0x38b4, v16
	;; [unrolled: 1-line block ×6, first 2 shown]
	v_sub_f16_e32 v4, v4, v11
	v_add_f16_e32 v8, v89, v107
	v_fma_f16 v11, -0.5, v95, v80
	v_sub_f16_e32 v14, v89, v35
	v_sub_f16_e32 v16, v107, v114
	v_add_f16_e32 v31, v31, v32
	v_sub_f16_e32 v32, v110, v12
	v_sub_f16_e32 v12, v12, v87
	v_fmamk_f16 v117, v113, 0xbb9c, v76
	v_fmac_f16_e32 v76, 0x3b9c, v113
	v_add_f16_e32 v17, v17, v35
	v_fmac_f16_e32 v80, -0.5, v8
	v_add_f16_e32 v8, v14, v16
	v_fmamk_f16 v14, v10, 0xbb9c, v11
	v_fmac_f16_e32 v11, 0x3b9c, v10
	v_add_f16_e32 v32, v32, v81
	v_fmamk_f16 v115, v12, 0x3b9c, v112
	v_fmac_f16_e32 v112, 0xbb9c, v12
	v_fmac_f16_e32 v117, 0x38b4, v12
	;; [unrolled: 1-line block ×3, first 2 shown]
	v_add_f16_e32 v12, v29, v87
	v_add_f16_e32 v16, v17, v114
	v_sub_f16_e32 v17, v35, v89
	v_fmac_f16_e32 v14, 0xb8b4, v4
	v_sub_f16_e32 v29, v114, v107
	v_fmac_f16_e32 v11, 0x38b4, v4
	v_sub_f16_e32 v30, v30, v15
	v_fmamk_f16 v110, v102, 0x3b9c, v78
	v_fmac_f16_e32 v78, 0xbb9c, v102
	v_fmac_f16_e32 v19, 0x34f2, v32
	;; [unrolled: 1-line block ×3, first 2 shown]
	v_fmamk_f16 v32, v4, 0x3b9c, v80
	v_fmac_f16_e32 v14, 0x34f2, v8
	v_add_f16_e32 v17, v17, v29
	v_fmac_f16_e32 v11, 0x34f2, v8
	v_fmac_f16_e32 v80, 0xbb9c, v4
	v_sub_f16_e32 v4, v6, v0
	v_sub_f16_e32 v8, v2, v1
	v_add_f16_e32 v29, v0, v1
	v_add_f16_e32 v13, v13, v40
	v_fmamk_f16 v40, v100, 0xbb9c, v69
	v_fmac_f16_e32 v69, 0x3b9c, v100
	v_fmamk_f16 v106, v30, 0xbb9c, v101
	v_fmac_f16_e32 v101, 0x3b9c, v30
	v_fmac_f16_e32 v42, 0xb8b4, v98
	;; [unrolled: 1-line block ×5, first 2 shown]
	v_add_f16_e32 v4, v4, v8
	v_add_f16_e32 v8, v44, v6
	v_fma_f16 v29, -0.5, v29, v44
	v_sub_f16_e32 v30, v85, v39
	v_add_f16_e32 v82, v82, v84
	v_sub_f16_e32 v84, v35, v114
	v_fmac_f16_e32 v40, 0x38b4, v119
	v_fmac_f16_e32 v69, 0xb8b4, v119
	;; [unrolled: 1-line block ×6, first 2 shown]
	v_add_f16_e32 v10, v6, v2
	v_fmamk_f16 v35, v30, 0x3b9c, v29
	v_add_f16_e32 v8, v8, v0
	v_sub_f16_e32 v37, v86, v28
	v_fmac_f16_e32 v29, 0xbb9c, v30
	v_fmac_f16_e32 v40, 0x34f2, v31
	;; [unrolled: 1-line block ×3, first 2 shown]
	v_lshrrev_b32_e32 v31, 16, v44
	v_fmac_f16_e32 v44, -0.5, v10
	v_add_f16_e32 v8, v8, v1
	v_fmac_f16_e32 v35, 0x38b4, v37
	v_fmac_f16_e32 v29, 0xb8b4, v37
	v_add_f16_e32 v13, v13, v15
	v_add_f16_e32 v15, v33, v108
	v_fmac_f16_e32 v32, 0x34f2, v17
	v_sub_f16_e32 v10, v0, v6
	v_sub_f16_e32 v33, v1, v2
	v_fmac_f16_e32 v80, 0x34f2, v17
	v_fmamk_f16 v17, v37, 0xbb9c, v44
	v_fmac_f16_e32 v44, 0x3b9c, v37
	v_add_f16_e32 v8, v8, v2
	v_sub_f16_e32 v2, v6, v2
	v_fmac_f16_e32 v35, 0x34f2, v4
	v_fmac_f16_e32 v29, 0x34f2, v4
	v_add_f16_e32 v4, v86, v28
	v_add_f16_e32 v6, v31, v85
	v_sub_f16_e32 v41, v41, v108
	v_fmamk_f16 v103, v105, 0xbb9c, v70
	v_fmac_f16_e32 v70, 0x3b9c, v105
	v_fmac_f16_e32 v17, 0x38b4, v30
	;; [unrolled: 1-line block ×3, first 2 shown]
	v_sub_f16_e32 v0, v0, v1
	v_add_f16_e32 v1, v85, v39
	v_fma_f16 v30, -0.5, v4, v31
	v_add_f16_e32 v4, v6, v86
	v_fmamk_f16 v90, v41, 0x3b9c, v92
	v_fmac_f16_e32 v92, 0xbb9c, v41
	v_fmac_f16_e32 v103, 0x38b4, v41
	;; [unrolled: 1-line block ×3, first 2 shown]
	v_fmac_f16_e32 v31, -0.5, v1
	v_add_f16_e32 v4, v4, v28
	v_fmamk_f16 v41, v2, 0xbb9c, v30
	v_fmac_f16_e32 v30, 0x3b9c, v2
	v_add_f16_e32 v10, v10, v33
	v_sub_f16_e32 v33, v85, v86
	v_sub_f16_e32 v37, v39, v28
	v_add_f16_e32 v4, v4, v39
	v_sub_f16_e32 v28, v28, v39
	v_fmamk_f16 v39, v0, 0x3b9c, v31
	v_fmac_f16_e32 v41, 0xb8b4, v0
	v_fmac_f16_e32 v31, 0xbb9c, v0
	;; [unrolled: 1-line block ×3, first 2 shown]
	v_and_b32_e32 v0, 0xffff, v57
	v_sub_f16_e32 v81, v89, v107
	v_add_f16_e32 v18, v18, v91
	v_add_f16_e32 v1, v33, v37
	v_lshlrev_b32_e32 v6, 2, v68
	v_mul_u32_u24_e32 v0, 0x258, v0
	v_fmac_f16_e32 v90, 0x38b4, v105
	v_fmac_f16_e32 v106, 0xb8b4, v102
	;; [unrolled: 1-line block ×6, first 2 shown]
	v_and_b32_e32 v2, 0xffff, v58
	v_fmac_f16_e32 v92, 0xb8b4, v105
	v_fmac_f16_e32 v101, 0x38b4, v102
	v_fmamk_f16 v100, v81, 0x3b9c, v27
	v_fmac_f16_e32 v41, 0x34f2, v1
	v_fmac_f16_e32 v30, 0x34f2, v1
	v_add3_u32 v0, 0, v0, v6
	v_pack_b32_f16 v1, v3, v18
	v_pack_b32_f16 v3, v36, v42
	v_fmac_f16_e32 v115, 0x38b4, v113
	v_fmac_f16_e32 v120, 0xb8b4, v111
	;; [unrolled: 1-line block ×6, first 2 shown]
	v_lshlrev_b32_e32 v10, 2, v71
	v_pack_b32_f16 v6, v40, v88
	v_pack_b32_f16 v18, v69, v79
	v_mul_u32_u24_e32 v2, 0x258, v2
	v_fmac_f16_e32 v103, 0x34f2, v97
	v_fmac_f16_e32 v70, 0x34f2, v97
	;; [unrolled: 1-line block ×8, first 2 shown]
	v_fmamk_f16 v119, v84, 0xbb9c, v43
	v_fmac_f16_e32 v43, 0x3b9c, v84
	v_fmac_f16_e32 v27, 0xbb9c, v81
	;; [unrolled: 1-line block ×3, first 2 shown]
	ds_store_2addr_b32 v0, v1, v3 offset1:30
	ds_store_2addr_b32 v0, v6, v18 offset0:60 offset1:90
	v_pack_b32_f16 v1, v7, v34
	v_add_f16_e32 v9, v9, v38
	v_fmac_f16_e32 v115, 0x34f2, v109
	v_fmac_f16_e32 v120, 0x34f2, v118
	v_lshlrev_b32_e32 v33, 2, v72
	v_add3_u32 v2, 0, v2, v10
	v_pack_b32_f16 v3, v13, v15
	v_pack_b32_f16 v6, v90, v106
	v_mul_u32_u24_e32 v15, 0x258, v62
	v_fmac_f16_e32 v117, 0x34f2, v116
	v_fmac_f16_e32 v76, 0x34f2, v116
	v_sub_f16_e32 v38, v86, v85
	v_pack_b32_f16 v7, v103, v110
	v_pack_b32_f16 v10, v70, v78
	v_fmac_f16_e32 v112, 0x34f2, v109
	v_fmac_f16_e32 v121, 0x34f2, v118
	v_pack_b32_f16 v13, v92, v101
	v_fmac_f16_e32 v119, 0x38b4, v81
	v_fmac_f16_e32 v43, 0xb8b4, v81
	v_add_f16_e32 v5, v96, v5
	v_fmac_f16_e32 v27, 0xb8b4, v84
	v_fmac_f16_e32 v100, 0x34f2, v82
	v_add_f16_e32 v16, v16, v107
	v_lshlrev_b32_e32 v37, 2, v74
	ds_store_b32 v0, v1 offset:480
	ds_store_2addr_b32 v2, v3, v6 offset1:30
	ds_store_2addr_b32 v2, v7, v10 offset0:60 offset1:90
	ds_store_b32 v2, v13 offset:480
	v_mul_u32_u24_e32 v2, 0x258, v59
	v_add3_u32 v0, 0, v15, v33
	v_pack_b32_f16 v1, v9, v12
	v_pack_b32_f16 v3, v115, v120
	v_add_f16_e32 v28, v38, v28
	v_pack_b32_f16 v6, v117, v19
	v_pack_b32_f16 v7, v76, v77
	;; [unrolled: 1-line block ×3, first 2 shown]
	v_fmac_f16_e32 v119, 0x34f2, v94
	v_fmac_f16_e32 v43, 0x34f2, v94
	;; [unrolled: 1-line block ×3, first 2 shown]
	v_add3_u32 v2, 0, v2, v37
	v_pack_b32_f16 v5, v5, v16
	v_pack_b32_f16 v10, v100, v14
	v_lshlrev_b32_e32 v68, 2, v73
	ds_store_2addr_b32 v0, v1, v3 offset1:30
	ds_store_2addr_b32 v0, v6, v7 offset0:60 offset1:90
	ds_store_b32 v0, v9 offset:480
	v_mul_u32_u24_e32 v0, 0x258, v65
	v_fmac_f16_e32 v39, 0x34f2, v28
	v_fmac_f16_e32 v31, 0x34f2, v28
	v_pack_b32_f16 v1, v119, v32
	v_pack_b32_f16 v3, v43, v80
	ds_store_2addr_b32 v2, v5, v10 offset1:30
	v_pack_b32_f16 v5, v27, v11
	v_add3_u32 v0, 0, v0, v68
	v_pack_b32_f16 v4, v8, v4
	v_pack_b32_f16 v6, v35, v41
	;; [unrolled: 1-line block ×5, first 2 shown]
	ds_store_2addr_b32 v2, v1, v3 offset0:60 offset1:90
	ds_store_b32 v2, v5 offset:480
	ds_store_2addr_b32 v0, v4, v6 offset1:30
	ds_store_2addr_b32 v0, v7, v8 offset0:60 offset1:90
	ds_store_b32 v0, v9 offset:480
	v_add_nc_u32_e32 v0, 0x1800, v45
	global_wb scope:SCOPE_SE
	s_wait_dscnt 0x0
	s_barrier_signal -1
	s_barrier_wait -1
	global_inv scope:SCOPE_SE
	ds_load_2addr_b32 v[2:3], v67 offset0:118 offset1:238
	ds_load_2addr_b32 v[8:9], v63 offset0:100 offset1:220
	;; [unrolled: 1-line block ×4, first 2 shown]
	ds_load_b32 v33, v45 offset:8520
	ds_load_b32 v34, v45
	ds_load_b32 v32, v47
	;; [unrolled: 1-line block ×3, first 2 shown]
	v_add_nc_u32_e32 v0, 0x1200, v45
	ds_load_2addr_b32 v[6:7], v75 offset0:14 offset1:104
	ds_load_2addr_b32 v[16:17], v61 offset0:124 offset1:214
	;; [unrolled: 1-line block ×6, first 2 shown]
	s_and_saveexec_b32 s2, s1
	s_cbranch_execz .LBB0_21
; %bb.20:
	ds_load_b32 v29, v45 offset:2880
	ds_load_b32 v54, v45 offset:5880
	;; [unrolled: 1-line block ×3, first 2 shown]
	s_wait_dscnt 0x2
	v_lshrrev_b32_e32 v30, 16, v29
	s_wait_dscnt 0x1
	v_lshrrev_b32_e32 v55, 16, v54
	;; [unrolled: 2-line block ×3, first 2 shown]
.LBB0_21:
	s_wait_alu 0xfffe
	s_or_b32 exec_lo, exec_lo, s2
	v_dual_mov_b32 v1, 0 :: v_dual_lshlrev_b32 v0, 1, v20
	v_subrev_nc_u32_e32 v35, 60, v20
	v_cmp_gt_u32_e64 s2, 60, v20
	v_lshrrev_b16 v39, 1, v25
	v_lshrrev_b16 v42, 1, v49
	;; [unrolled: 1-line block ×4, first 2 shown]
	s_wait_alu 0xf1ff
	v_cndmask_b32_e64 v61, v35, v24, s2
	v_lshlrev_b64_e32 v[35:36], 2, v[0:1]
	v_add_nc_u32_e32 v0, 60, v0
	v_dual_mov_b32 v38, v1 :: v_dual_and_b32 v41, 0xffff, v39
	s_delay_alu instid0(VALU_DEP_4) | instskip(SKIP_1) | instid1(VALU_DEP_4)
	v_lshlrev_b32_e32 v37, 1, v61
	v_and_b32_e32 v42, 0xffff, v42
	v_lshlrev_b64_e32 v[39:40], 2, v[0:1]
	v_lshrrev_b16 v0, 1, v21
	v_mul_u32_u24_e32 v41, 0xda75, v41
	v_and_b32_e32 v43, 0xffff, v43
	v_and_b32_e32 v44, 0xffff, v44
	v_add_co_u32 v35, s2, s4, v35
	v_and_b32_e32 v0, 0xffff, v0
	v_lshlrev_b64_e32 v[37:38], 2, v[37:38]
	s_wait_alu 0xf1ff
	v_add_co_ci_u32_e64 v36, s2, s5, v36, s2
	v_mul_u32_u24_e32 v42, 0xda75, v42
	v_mul_u32_u24_e32 v0, 0xda75, v0
	v_lshrrev_b32_e32 v62, 22, v41
	v_mul_u32_u24_e32 v41, 0xda75, v43
	v_mul_u32_u24_e32 v43, 0xda75, v44
	global_load_b64 v[35:36], v[35:36], off offset:560
	v_lshrrev_b32_e32 v0, 22, v0
	v_add_co_u32 v37, s2, s4, v37
	v_lshrrev_b32_e32 v42, 22, v42
	v_mul_lo_u16 v44, 0x96, v62
	v_lshrrev_b32_e32 v63, 22, v41
	s_wait_alu 0xf1ff
	v_add_co_ci_u32_e64 v38, s2, s5, v38, s2
	v_mul_lo_u16 v0, 0x96, v0
	v_lshrrev_b32_e32 v41, 22, v43
	v_add_co_u32 v39, s2, s4, v39
	global_load_b64 v[37:38], v[37:38], off offset:560
	s_wait_alu 0xf1ff
	v_add_co_ci_u32_e64 v40, s2, s5, v40, s2
	v_mul_lo_u16 v42, 0x96, v42
	v_sub_nc_u16 v43, v25, v44
	v_mul_lo_u16 v44, 0x96, v63
	v_sub_nc_u16 v0, v21, v0
	v_mul_lo_u16 v41, 0x96, v41
	global_load_b64 v[39:40], v[39:40], off offset:560
	v_sub_nc_u16 v42, v49, v42
	v_and_b32_e32 v64, 0xffff, v43
	v_sub_nc_u16 v43, v50, v44
	v_and_b32_e32 v0, 0xffff, v0
	v_sub_nc_u16 v41, v51, v41
	v_and_b32_e32 v51, 0xffff, v42
	v_lshlrev_b32_e32 v42, 3, v64
	v_and_b32_e32 v65, 0xffff, v43
	v_lshlrev_b32_e32 v43, 3, v0
	v_and_b32_e32 v66, 0xffff, v41
	v_lshlrev_b32_e32 v49, 3, v51
	global_load_b64 v[41:42], v42, s[4:5] offset:560
	v_lshlrev_b32_e32 v57, 3, v65
	global_load_b64 v[43:44], v43, s[4:5] offset:560
	v_lshlrev_b32_e32 v59, 3, v66
	s_clause 0x2
	global_load_b64 v[49:50], v49, s[4:5] offset:560
	global_load_b64 v[57:58], v57, s[4:5] offset:560
	;; [unrolled: 1-line block ×3, first 2 shown]
	v_mul_u32_u24_e32 v62, 0x708, v62
	v_lshlrev_b32_e32 v64, 2, v64
	s_wait_dscnt 0xd
	v_lshrrev_b32_e32 v84, 16, v3
	s_wait_dscnt 0xc
	v_lshrrev_b32_e32 v85, 16, v9
	v_mul_u32_u24_e32 v63, 0x708, v63
	v_lshlrev_b32_e32 v65, 2, v65
	v_add3_u32 v62, 0, v62, v64
	s_wait_dscnt 0x8
	v_lshrrev_b32_e32 v67, 16, v34
	v_lshrrev_b32_e32 v86, 16, v27
	;; [unrolled: 1-line block ×3, first 2 shown]
	v_add3_u32 v63, 0, v63, v65
	v_lshrrev_b32_e32 v89, 16, v28
	v_lshrrev_b32_e32 v90, 16, v19
	s_wait_dscnt 0x7
	v_lshrrev_b32_e32 v68, 16, v32
	s_wait_dscnt 0x6
	;; [unrolled: 2-line block ×3, first 2 shown]
	v_lshrrev_b32_e32 v71, 16, v14
	v_lshrrev_b32_e32 v91, 16, v16
	;; [unrolled: 1-line block ×4, first 2 shown]
	s_wait_dscnt 0x1
	v_lshrrev_b32_e32 v76, 16, v12
	s_wait_dscnt 0x0
	v_lshrrev_b32_e32 v77, 16, v10
	v_lshrrev_b32_e32 v79, 16, v13
	;; [unrolled: 1-line block ×5, first 2 shown]
	v_cmp_lt_u32_e64 s2, 59, v20
	v_lshrrev_b32_e32 v70, 16, v6
	v_lshrrev_b32_e32 v72, 16, v7
	v_lshlrev_b32_e32 v61, 2, v61
	global_wb scope:SCOPE_SE
	s_wait_loadcnt 0x0
	s_wait_alu 0xf1ff
	v_cndmask_b32_e64 v87, 0, 0x708, s2
	s_barrier_signal -1
	s_barrier_wait -1
	global_inv scope:SCOPE_SE
	v_lshrrev_b32_e32 v75, 16, v4
	v_lshrrev_b32_e32 v78, 16, v5
	;; [unrolled: 1-line block ×3, first 2 shown]
	v_add3_u32 v61, 0, v87, v61
	v_lshl_add_u32 v0, v0, 2, 0
	v_lshl_add_u32 v51, v51, 2, 0
	;; [unrolled: 1-line block ×3, first 2 shown]
	s_delay_alu instid0(VALU_DEP_3) | instskip(NEXT) | instid1(VALU_DEP_3)
	v_add_nc_u32_e32 v87, 0xe00, v0
	v_add_nc_u32_e32 v93, 0x1400, v51
	s_delay_alu instid0(VALU_DEP_3) | instskip(SKIP_2) | instid1(VALU_DEP_2)
	v_add_nc_u32_e32 v95, 0x1c00, v66
	v_lshrrev_b32_e32 v64, 16, v35
	v_lshrrev_b32_e32 v92, 16, v36
	v_mul_f16_e32 v65, v64, v84
	v_mul_f16_e32 v64, v64, v3
	s_delay_alu instid0(VALU_DEP_3) | instskip(SKIP_1) | instid1(VALU_DEP_4)
	v_mul_f16_e32 v94, v92, v85
	v_mul_f16_e32 v92, v92, v9
	v_fma_f16 v3, v35, v3, -v65
	s_delay_alu instid0(VALU_DEP_4) | instskip(NEXT) | instid1(VALU_DEP_4)
	v_fmac_f16_e32 v64, v35, v84
	v_fma_f16 v9, v36, v9, -v94
	v_lshrrev_b32_e32 v35, 16, v37
	v_fmac_f16_e32 v92, v36, v85
	v_lshrrev_b32_e32 v36, 16, v38
	v_add_f16_e32 v98, v34, v3
	v_add_f16_e32 v99, v3, v9
	v_mul_f16_e32 v85, v35, v86
	v_mul_f16_e32 v35, v35, v27
	;; [unrolled: 1-line block ×3, first 2 shown]
	v_lshrrev_b32_e32 v65, 16, v39
	v_lshrrev_b32_e32 v84, 16, v40
	v_mul_f16_e32 v36, v36, v18
	v_sub_f16_e32 v100, v64, v92
	v_add_f16_e32 v101, v67, v64
	v_mul_f16_e32 v96, v65, v89
	v_mul_f16_e32 v65, v65, v28
	v_add_f16_e32 v64, v64, v92
	v_mul_f16_e32 v97, v84, v90
	v_mul_f16_e32 v84, v84, v19
	v_sub_f16_e32 v3, v3, v9
	v_fma_f16 v27, v37, v27, -v85
	v_fmac_f16_e32 v35, v37, v86
	v_fma_f16 v18, v38, v18, -v94
	v_fmac_f16_e32 v36, v38, v88
	;; [unrolled: 2-line block ×3, first 2 shown]
	v_add_f16_e32 v9, v98, v9
	v_fmac_f16_e32 v34, -0.5, v99
	v_add_f16_e32 v37, v101, v92
	v_fmac_f16_e32 v67, -0.5, v64
	v_lshrrev_b32_e32 v38, 16, v41
	v_lshrrev_b32_e32 v39, 16, v42
	v_fma_f16 v19, v40, v19, -v97
	v_fmac_f16_e32 v84, v40, v90
	v_lshrrev_b32_e32 v40, 16, v43
	v_lshrrev_b32_e32 v64, 16, v44
	;; [unrolled: 1-line block ×8, first 2 shown]
	v_fmamk_f16 v94, v100, 0x3aee, v34
	v_fmac_f16_e32 v34, 0xbaee, v100
	v_fmamk_f16 v96, v3, 0xbaee, v67
	v_fmac_f16_e32 v67, 0x3aee, v3
	v_add_f16_e32 v3, v32, v27
	v_add_f16_e32 v97, v27, v18
	v_sub_f16_e32 v98, v35, v36
	v_add_f16_e32 v99, v68, v35
	v_add_f16_e32 v35, v35, v36
	v_add_f16_e32 v100, v31, v28
	v_add_f16_e32 v103, v69, v65
	v_pack_b32_f16 v9, v9, v37
	v_mul_f16_e32 v37, v38, v91
	v_mul_f16_e32 v38, v38, v16
	;; [unrolled: 1-line block ×4, first 2 shown]
	v_add_f16_e32 v101, v28, v19
	v_sub_f16_e32 v102, v65, v84
	v_add_f16_e32 v65, v65, v84
	v_mul_f16_e32 v105, v73, v40
	v_mul_f16_e32 v40, v17, v40
	v_mul_f16_e32 v106, v74, v64
	v_mul_f16_e32 v64, v15, v64
	v_mul_f16_e32 v107, v76, v85
	v_mul_f16_e32 v85, v12, v85
	v_mul_f16_e32 v108, v77, v86
	v_mul_f16_e32 v86, v10, v86
	v_sub_f16_e32 v27, v27, v18
	v_sub_f16_e32 v28, v28, v19
	v_mul_f16_e32 v109, v79, v88
	v_mul_f16_e32 v88, v13, v88
	;; [unrolled: 1-line block ×8, first 2 shown]
	v_add_f16_e32 v3, v3, v18
	v_fmac_f16_e32 v32, -0.5, v97
	v_add_f16_e32 v18, v99, v36
	v_fmac_f16_e32 v68, -0.5, v35
	v_add_f16_e32 v19, v100, v19
	v_add_f16_e32 v35, v103, v84
	v_pack_b32_f16 v36, v94, v96
	v_fma_f16 v16, v41, v16, -v37
	v_fmac_f16_e32 v38, v41, v91
	v_fma_f16 v14, v14, v42, -v104
	v_fmac_f16_e32 v39, v71, v42
	v_pack_b32_f16 v34, v34, v67
	v_fmac_f16_e32 v31, -0.5, v101
	v_fmac_f16_e32 v69, -0.5, v65
	v_fma_f16 v17, v17, v43, -v105
	v_fmac_f16_e32 v40, v73, v43
	v_fma_f16 v15, v15, v44, -v106
	v_fmac_f16_e32 v64, v74, v44
	;; [unrolled: 2-line block ×8, first 2 shown]
	v_fmamk_f16 v37, v98, 0x3aee, v32
	v_fmamk_f16 v41, v27, 0xbaee, v68
	ds_store_2addr_b32 v45, v9, v36 offset1:150
	ds_store_b32 v45, v34 offset:1200
	v_pack_b32_f16 v9, v19, v35
	v_add_f16_e32 v19, v16, v14
	v_add_f16_e32 v35, v38, v39
	v_fmac_f16_e32 v32, 0xbaee, v98
	v_fmac_f16_e32 v68, 0x3aee, v27
	v_fmamk_f16 v27, v102, 0x3aee, v31
	v_fmamk_f16 v42, v28, 0xbaee, v69
	v_fmac_f16_e32 v69, 0x3aee, v28
	v_sub_f16_e32 v28, v38, v39
	v_add_f16_e32 v34, v70, v38
	v_add_f16_e32 v38, v17, v15
	v_sub_f16_e32 v43, v40, v64
	v_add_f16_e32 v44, v72, v40
	v_add_f16_e32 v40, v40, v64
	v_fmac_f16_e32 v31, 0xbaee, v102
	v_add_f16_e32 v50, v12, v10
	v_add_f16_e32 v59, v85, v86
	v_pack_b32_f16 v3, v3, v18
	v_add_f16_e32 v18, v6, v16
	v_sub_f16_e32 v16, v16, v14
	v_add_f16_e32 v65, v13, v11
	v_add_f16_e32 v73, v88, v89
	;; [unrolled: 1-line block ×4, first 2 shown]
	v_pack_b32_f16 v37, v37, v41
	v_fma_f16 v6, -0.5, v19, v6
	v_fmac_f16_e32 v70, -0.5, v35
	v_pack_b32_f16 v32, v32, v68
	v_add_f16_e32 v36, v7, v17
	v_sub_f16_e32 v17, v17, v15
	v_pack_b32_f16 v27, v27, v42
	v_fmac_f16_e32 v7, -0.5, v38
	v_fmac_f16_e32 v72, -0.5, v40
	v_add_f16_e32 v49, v4, v12
	v_sub_f16_e32 v57, v85, v86
	v_add_f16_e32 v58, v75, v85
	v_sub_f16_e32 v12, v12, v10
	v_pack_b32_f16 v31, v31, v69
	v_fma_f16 v4, -0.5, v50, v4
	v_fmac_f16_e32 v75, -0.5, v59
	v_add_f16_e32 v60, v5, v13
	v_sub_f16_e32 v67, v88, v89
	v_add_f16_e32 v71, v78, v88
	v_sub_f16_e32 v13, v13, v11
	;; [unrolled: 2-line block ×4, first 2 shown]
	v_add_f16_e32 v14, v18, v14
	v_add_f16_e32 v18, v34, v39
	v_fmac_f16_e32 v5, -0.5, v65
	v_fmac_f16_e32 v78, -0.5, v73
	;; [unrolled: 1-line block ×4, first 2 shown]
	ds_store_2addr_b32 v61, v3, v37 offset1:150
	ds_store_b32 v61, v32 offset:1200
	ds_store_2addr_b32 v56, v9, v27 offset0:96 offset1:246
	ds_store_b32 v45, v31 offset:3120
	v_fmamk_f16 v3, v28, 0x3aee, v6
	v_fmamk_f16 v9, v16, 0xbaee, v70
	v_fmac_f16_e32 v6, 0xbaee, v28
	v_fmac_f16_e32 v70, 0x3aee, v16
	v_add_f16_e32 v15, v36, v15
	v_add_f16_e32 v19, v44, v64
	v_fmamk_f16 v16, v43, 0x3aee, v7
	v_fmamk_f16 v27, v17, 0xbaee, v72
	v_add_f16_e32 v10, v49, v10
	v_add_f16_e32 v34, v58, v86
	v_fmac_f16_e32 v72, 0x3aee, v17
	v_fmamk_f16 v17, v57, 0x3aee, v4
	v_fmamk_f16 v28, v12, 0xbaee, v75
	v_fmac_f16_e32 v7, 0xbaee, v43
	v_add_f16_e32 v11, v60, v11
	v_add_f16_e32 v35, v71, v89
	;; [unrolled: 1-line block ×4, first 2 shown]
	v_fmac_f16_e32 v4, 0xbaee, v57
	v_fmac_f16_e32 v75, 0x3aee, v12
	v_fmamk_f16 v12, v67, 0x3aee, v5
	v_fmac_f16_e32 v5, 0xbaee, v67
	v_fmamk_f16 v31, v13, 0xbaee, v78
	;; [unrolled: 2-line block ×4, first 2 shown]
	v_fmac_f16_e32 v81, 0x3aee, v8
	v_pack_b32_f16 v8, v14, v18
	v_pack_b32_f16 v3, v3, v9
	;; [unrolled: 1-line block ×15, first 2 shown]
	ds_store_2addr_b32 v62, v8, v3 offset1:150
	ds_store_b32 v62, v6 offset:1200
	ds_store_2addr_b32 v87, v14, v9 offset0:4 offset1:154
	ds_store_2addr_b32 v93, v10, v16 offset0:70 offset1:220
	ds_store_b32 v0, v7 offset:4800
	ds_store_b32 v51, v4 offset:6600
	ds_store_2addr_b32 v63, v11, v12 offset1:150
	ds_store_b32 v63, v5 offset:1200
	ds_store_2addr_b32 v95, v15, v13 offset0:8 offset1:158
	ds_store_b32 v66, v2 offset:8400
	s_and_saveexec_b32 s2, s1
	s_cbranch_execz .LBB0_23
; %bb.22:
	v_lshrrev_b16 v0, 1, v48
	s_delay_alu instid0(VALU_DEP_1) | instskip(NEXT) | instid1(VALU_DEP_1)
	v_and_b32_e32 v0, 0xffff, v0
	v_mul_u32_u24_e32 v0, 0xda75, v0
	s_delay_alu instid0(VALU_DEP_1) | instskip(NEXT) | instid1(VALU_DEP_1)
	v_lshrrev_b32_e32 v0, 22, v0
	v_mul_lo_u16 v0, 0x96, v0
	s_delay_alu instid0(VALU_DEP_1) | instskip(NEXT) | instid1(VALU_DEP_1)
	v_sub_nc_u16 v0, v48, v0
	v_and_b32_e32 v0, 0xffff, v0
	s_delay_alu instid0(VALU_DEP_1)
	v_lshlrev_b32_e32 v2, 3, v0
	v_lshl_add_u32 v0, v0, 2, 0
	global_load_b64 v[2:3], v2, s[4:5] offset:560
	s_wait_loadcnt 0x0
	v_lshrrev_b32_e32 v4, 16, v2
	v_lshrrev_b32_e32 v5, 16, v3
	s_delay_alu instid0(VALU_DEP_2) | instskip(SKIP_1) | instid1(VALU_DEP_3)
	v_mul_f16_e32 v6, v55, v4
	v_mul_f16_e32 v4, v54, v4
	;; [unrolled: 1-line block ×4, first 2 shown]
	s_delay_alu instid0(VALU_DEP_4) | instskip(NEXT) | instid1(VALU_DEP_4)
	v_fma_f16 v6, v54, v2, -v6
	v_fmac_f16_e32 v4, v55, v2
	s_delay_alu instid0(VALU_DEP_4) | instskip(NEXT) | instid1(VALU_DEP_4)
	v_fmac_f16_e32 v7, v53, v3
	v_fma_f16 v2, v52, v3, -v5
	s_delay_alu instid0(VALU_DEP_3) | instskip(NEXT) | instid1(VALU_DEP_3)
	v_add_f16_e32 v9, v30, v4
	v_add_f16_e32 v3, v4, v7
	s_delay_alu instid0(VALU_DEP_3)
	v_add_f16_e32 v8, v6, v2
	v_sub_f16_e32 v5, v6, v2
	v_add_f16_e32 v6, v29, v6
	v_sub_f16_e32 v4, v4, v7
	v_fma_f16 v3, -0.5, v3, v30
	v_fma_f16 v8, -0.5, v8, v29
	v_add_f16_e32 v7, v9, v7
	v_add_f16_e32 v2, v6, v2
	s_delay_alu instid0(VALU_DEP_4)
	v_fmamk_f16 v6, v5, 0x3aee, v3
	v_fmac_f16_e32 v3, 0xbaee, v5
	v_fmamk_f16 v5, v4, 0xbaee, v8
	v_fmac_f16_e32 v8, 0x3aee, v4
	v_add_nc_u32_e32 v4, 0x1c00, v0
	v_pack_b32_f16 v2, v2, v7
	s_delay_alu instid0(VALU_DEP_4) | instskip(NEXT) | instid1(VALU_DEP_4)
	v_pack_b32_f16 v5, v5, v6
	v_pack_b32_f16 v3, v8, v3
	ds_store_2addr_b32 v4, v2, v3 offset0:8 offset1:158
	ds_store_b32 v0, v5 offset:8400
.LBB0_23:
	s_wait_alu 0xfffe
	s_or_b32 exec_lo, exec_lo, s2
	v_dual_mov_b32 v3, v1 :: v_dual_lshlrev_b32 v0, 2, v20
	v_dual_mov_b32 v7, v1 :: v_dual_lshlrev_b32 v2, 2, v24
	;; [unrolled: 1-line block ×3, first 2 shown]
	s_delay_alu instid0(VALU_DEP_3) | instskip(NEXT) | instid1(VALU_DEP_3)
	v_lshlrev_b64_e32 v[4:5], 2, v[0:1]
	v_lshlrev_b64_e32 v[2:3], 2, v[2:3]
	v_dual_mov_b32 v11, v1 :: v_dual_lshlrev_b32 v8, 2, v25
	s_delay_alu instid0(VALU_DEP_4)
	v_lshlrev_b64_e32 v[6:7], 2, v[6:7]
	v_lshlrev_b32_e32 v10, 2, v21
	v_add_co_u32 v4, s1, s4, v4
	s_wait_alu 0xf1ff
	v_add_co_ci_u32_e64 v5, s1, s5, v5, s1
	v_add_co_u32 v2, s1, s4, v2
	s_wait_alu 0xf1ff
	v_add_co_ci_u32_e64 v3, s1, s5, v3, s1
	;; [unrolled: 3-line block ×3, first 2 shown]
	v_lshlrev_b64_e32 v[8:9], 2, v[8:9]
	global_wb scope:SCOPE_SE
	s_wait_dscnt 0x0
	s_barrier_signal -1
	s_barrier_wait -1
	global_inv scope:SCOPE_SE
	s_clause 0x2
	global_load_b128 v[29:32], v[4:5], off offset:1760
	global_load_b128 v[33:36], v[2:3], off offset:1760
	;; [unrolled: 1-line block ×3, first 2 shown]
	v_lshlrev_b64_e32 v[1:2], 2, v[10:11]
	v_add_co_u32 v3, s1, s4, v8
	s_wait_alu 0xf1ff
	v_add_co_ci_u32_e64 v4, s1, s5, v9, s1
	v_add_nc_u32_e32 v5, 0xe00, v45
	s_delay_alu instid0(VALU_DEP_4)
	v_add_co_u32 v1, s1, s4, v1
	s_wait_alu 0xf1ff
	v_add_co_ci_u32_e64 v2, s1, s5, v2, s1
	s_clause 0x1
	global_load_b128 v[41:44], v[3:4], off offset:1760
	global_load_b128 v[48:51], v[1:2], off offset:1760
	v_add_nc_u32_e32 v4, 0x1a00, v45
	v_add_nc_u32_e32 v1, 0x600, v45
	;; [unrolled: 1-line block ×4, first 2 shown]
	ds_load_b32 v11, v45
	ds_load_b32 v7, v47
	;; [unrolled: 1-line block ×3, first 2 shown]
	v_add_nc_u32_e32 v9, 0x800, v45
	v_add_nc_u32_e32 v10, 0x1600, v45
	;; [unrolled: 1-line block ×3, first 2 shown]
	ds_load_2addr_b32 v[52:53], v4 offset0:46 offset1:136
	ds_load_2addr_b32 v[18:19], v1 offset0:66 offset1:156
	;; [unrolled: 1-line block ×6, first 2 shown]
	v_add_nc_u32_e32 v4, 0x1000, v45
	v_add_nc_u32_e32 v5, 0x2000, v45
	;; [unrolled: 1-line block ×3, first 2 shown]
	ds_load_2addr_b32 v[62:63], v10 offset0:122 offset1:212
	ds_load_2addr_b32 v[1:2], v3 offset0:14 offset1:104
	;; [unrolled: 1-line block ×5, first 2 shown]
	global_wb scope:SCOPE_SE
	s_wait_loadcnt_dscnt 0x0
	s_barrier_signal -1
	s_barrier_wait -1
	global_inv scope:SCOPE_SE
	s_mov_b32 s2, exec_lo
	v_lshrrev_b32_e32 v21, 16, v53
	v_lshrrev_b32_e32 v85, 16, v18
	;; [unrolled: 1-line block ×33, first 2 shown]
	v_mul_f16_e32 v102, v14, v85
	v_mul_f16_e32 v103, v14, v18
	;; [unrolled: 1-line block ×7, first 2 shown]
	v_lshrrev_b32_e32 v98, 16, v48
	v_mul_f16_e32 v109, v53, v17
	v_lshrrev_b32_e32 v90, 16, v37
	v_lshrrev_b32_e32 v91, 16, v38
	;; [unrolled: 1-line block ×11, first 2 shown]
	v_mul_f16_e32 v110, v25, v27
	v_mul_f16_e32 v111, v19, v27
	;; [unrolled: 1-line block ×10, first 2 shown]
	v_fmac_f16_e32 v103, v29, v85
	v_fmac_f16_e32 v105, v30, v86
	;; [unrolled: 1-line block ×4, first 2 shown]
	v_fma_f16 v29, v29, v18, -v102
	v_fma_f16 v30, v30, v69, -v104
	;; [unrolled: 1-line block ×4, first 2 shown]
	v_mul_f16_e32 v116, v73, v90
	v_mul_f16_e32 v90, v60, v90
	;; [unrolled: 1-line block ×22, first 2 shown]
	v_fma_f16 v53, v19, v33, -v110
	v_fmac_f16_e32 v111, v25, v33
	v_fma_f16 v33, v54, v34, -v112
	v_fmac_f16_e32 v113, v70, v34
	v_fmac_f16_e32 v88, v71, v35
	;; [unrolled: 1-line block ×3, first 2 shown]
	v_fma_f16 v21, v68, v48, -v122
	v_fmac_f16_e32 v14, v81, v48
	v_add_f16_e32 v48, v30, v31
	v_add_f16_e32 v54, v29, v32
	v_fma_f16 v34, v57, v35, -v114
	v_fma_f16 v35, v58, v36, -v115
	v_fma_f16 v36, v60, v37, -v116
	v_fmac_f16_e32 v90, v73, v37
	v_fma_f16 v37, v55, v38, -v117
	v_fmac_f16_e32 v91, v74, v38
	v_fma_f16 v38, v62, v39, -v118
	v_fmac_f16_e32 v92, v75, v39
	v_fma_f16 v39, v59, v40, -v119
	v_fmac_f16_e32 v93, v76, v40
	v_fma_f16 v40, v61, v41, -v120
	v_fmac_f16_e32 v27, v77, v41
	v_fma_f16 v41, v64, v42, -v94
	v_fmac_f16_e32 v28, v78, v42
	v_fma_f16 v42, v63, v43, -v95
	v_fmac_f16_e32 v96, v79, v43
	v_fma_f16 v43, v66, v44, -v121
	v_fmac_f16_e32 v97, v80, v44
	v_fma_f16 v19, v52, v50, -v99
	v_fmac_f16_e32 v17, v83, v50
	v_fma_f16 v25, v67, v51, -v100
	v_fmac_f16_e32 v15, v84, v51
	v_add_f16_e32 v44, v11, v29
	v_sub_f16_e32 v50, v105, v107
	v_sub_f16_e32 v51, v29, v30
	;; [unrolled: 1-line block ×9, first 2 shown]
	v_fma_f16 v48, -0.5, v48, v11
	v_fmac_f16_e32 v11, -0.5, v54
	v_fma_f16 v18, v65, v49, -v98
	v_fmac_f16_e32 v16, v82, v49
	v_sub_f16_e32 v49, v103, v109
	v_add_f16_e32 v57, v13, v103
	v_add_f16_e32 v58, v105, v107
	v_sub_f16_e32 v59, v30, v31
	v_sub_f16_e32 v60, v103, v105
	v_sub_f16_e32 v61, v109, v107
	v_add_f16_e32 v62, v103, v109
	v_add_f16_e32 v66, v33, v34
	;; [unrolled: 1-line block ×13, first 2 shown]
	v_fmamk_f16 v77, v50, 0xbb9c, v11
	v_fmac_f16_e32 v11, 0x3b9c, v50
	v_add_f16_e32 v65, v7, v53
	v_sub_f16_e32 v67, v111, v89
	v_add_f16_e32 v79, v111, v89
	v_sub_f16_e32 v80, v113, v111
	v_sub_f16_e32 v86, v36, v37
	;; [unrolled: 1-line block ×3, first 2 shown]
	v_add_f16_e32 v99, v10, v90
	v_sub_f16_e32 v101, v37, v38
	v_sub_f16_e32 v111, v27, v97
	v_add_f16_e32 v52, v57, v105
	v_fma_f16 v54, -0.5, v58, v13
	v_add_f16_e32 v55, v60, v61
	v_fmac_f16_e32 v13, -0.5, v62
	v_fma_f16 v57, -0.5, v66, v7
	v_fmac_f16_e32 v7, -0.5, v71
	v_add_f16_e32 v61, v74, v113
	v_fma_f16 v62, -0.5, v75, v12
	v_fma_f16 v71, -0.5, v100, v10
	v_fmac_f16_e32 v10, -0.5, v104
	v_fma_f16 v75, -0.5, v110, v1
	v_add_f16_e32 v30, v30, v31
	v_fmamk_f16 v31, v49, 0x3b9c, v48
	v_fmac_f16_e32 v48, 0xbb9c, v49
	v_fmac_f16_e32 v77, 0x38b4, v49
	v_fmac_f16_e32 v11, 0xb8b4, v49
	v_sub_f16_e32 v68, v113, v88
	v_sub_f16_e32 v81, v88, v89
	v_add_f16_e32 v82, v6, v36
	v_add_f16_e32 v94, v36, v39
	v_sub_f16_e32 v95, v37, v36
	v_sub_f16_e32 v36, v36, v39
	v_add_f16_e32 v108, v1, v40
	v_sub_f16_e32 v112, v28, v96
	v_sub_f16_e32 v114, v40, v41
	;; [unrolled: 1-line block ×3, first 2 shown]
	v_add_f16_e32 v116, v40, v43
	v_add_f16_e32 v66, v86, v87
	;; [unrolled: 1-line block ×4, first 2 shown]
	v_fmamk_f16 v87, v101, 0x3b9c, v10
	v_fmac_f16_e32 v10, 0xbb9c, v101
	v_fmamk_f16 v88, v111, 0x3b9c, v75
	v_fmac_f16_e32 v31, 0x38b4, v50
	v_fmac_f16_e32 v48, 0xb8b4, v50
	;; [unrolled: 1-line block ×5, first 2 shown]
	v_sub_f16_e32 v49, v41, v40
	v_sub_f16_e32 v50, v42, v43
	v_add_f16_e32 v51, v9, v27
	v_sub_f16_e32 v29, v29, v32
	v_sub_f16_e32 v69, v53, v33
	;; [unrolled: 1-line block ×4, first 2 shown]
	v_add_f16_e32 v83, v37, v38
	v_add_f16_e32 v33, v65, v33
	v_add_f16_e32 v37, v82, v37
	v_add_f16_e32 v74, v108, v41
	v_fmamk_f16 v86, v36, 0xbb9c, v71
	v_fmac_f16_e32 v71, 0x3b9c, v36
	v_add_f16_e32 v30, v30, v32
	v_add_f16_e32 v32, v52, v109
	v_fmac_f16_e32 v87, 0xb8b4, v36
	v_fmac_f16_e32 v10, 0x38b4, v36
	;; [unrolled: 1-line block ×3, first 2 shown]
	v_add_f16_e32 v36, v114, v115
	v_fma_f16 v1, -0.5, v116, v1
	v_fmac_f16_e32 v75, 0xb8b4, v112
	v_add_f16_e32 v52, v28, v96
	v_add_f16_e32 v49, v49, v50
	;; [unrolled: 1-line block ×3, first 2 shown]
	v_fmac_f16_e32 v12, -0.5, v79
	v_fmamk_f16 v79, v59, 0x3b9c, v13
	v_fmac_f16_e32 v13, 0xbb9c, v59
	v_add_f16_e32 v33, v33, v34
	v_add_f16_e32 v37, v37, v38
	;; [unrolled: 1-line block ×3, first 2 shown]
	v_fmac_f16_e32 v31, 0x34f2, v44
	v_fmac_f16_e32 v48, 0x34f2, v44
	;; [unrolled: 1-line block ×3, first 2 shown]
	v_fmamk_f16 v44, v112, 0xbb9c, v1
	v_fmac_f16_e32 v1, 0x3b9c, v112
	v_fma_f16 v51, -0.5, v52, v9
	v_sub_f16_e32 v40, v40, v43
	v_fmac_f16_e32 v75, 0x34f2, v36
	v_add_f16_e32 v36, v50, v96
	v_add_f16_e32 v50, v27, v97
	v_sub_f16_e32 v70, v35, v34
	v_sub_f16_e32 v73, v34, v35
	;; [unrolled: 1-line block ×4, first 2 shown]
	v_fmamk_f16 v78, v29, 0xbb9c, v54
	v_fmac_f16_e32 v54, 0x3b9c, v29
	v_fmac_f16_e32 v79, 0xb8b4, v29
	;; [unrolled: 1-line block ×3, first 2 shown]
	v_add_f16_e32 v29, v33, v35
	v_add_f16_e32 v35, v37, v39
	;; [unrolled: 1-line block ×3, first 2 shown]
	v_fmac_f16_e32 v44, 0x38b4, v111
	v_fmac_f16_e32 v1, 0xb8b4, v111
	v_fmamk_f16 v43, v40, 0xbb9c, v51
	v_sub_f16_e32 v41, v41, v42
	v_sub_f16_e32 v42, v27, v28
	;; [unrolled: 1-line block ×3, first 2 shown]
	v_fmac_f16_e32 v9, -0.5, v50
	v_fmac_f16_e32 v51, 0x3b9c, v40
	v_sub_f16_e32 v27, v28, v27
	v_sub_f16_e32 v28, v96, v97
	v_add_f16_e32 v50, v18, v19
	v_fmamk_f16 v82, v76, 0x3b9c, v12
	v_fmac_f16_e32 v12, 0xbb9c, v76
	v_fmac_f16_e32 v78, 0xb8b4, v59
	v_fmac_f16_e32 v54, 0x38b4, v59
	v_fmac_f16_e32 v44, 0x34f2, v49
	v_fmac_f16_e32 v1, 0x34f2, v49
	v_fmac_f16_e32 v43, 0xb8b4, v41
	v_add_f16_e32 v42, v42, v52
	v_fmamk_f16 v49, v41, 0x3b9c, v9
	v_fmac_f16_e32 v51, 0x38b4, v41
	v_add_f16_e32 v27, v27, v28
	v_fmac_f16_e32 v9, 0xbb9c, v41
	v_add_f16_e32 v28, v2, v21
	v_fma_f16 v41, -0.5, v50, v2
	v_sub_f16_e32 v50, v14, v15
	v_add_f16_e32 v64, v80, v81
	v_fmamk_f16 v81, v53, 0xbb9c, v62
	v_fmac_f16_e32 v62, 0x3b9c, v53
	v_fmac_f16_e32 v82, 0xb8b4, v53
	;; [unrolled: 1-line block ×9, first 2 shown]
	v_add_f16_e32 v28, v28, v18
	v_fmamk_f16 v40, v50, 0x3b9c, v41
	v_sub_f16_e32 v42, v16, v17
	v_sub_f16_e32 v52, v21, v18
	;; [unrolled: 1-line block ×3, first 2 shown]
	v_fmac_f16_e32 v41, 0xbb9c, v50
	v_add_f16_e32 v55, v21, v25
	v_add_f16_e32 v28, v28, v19
	v_fmac_f16_e32 v40, 0x38b4, v42
	v_add_f16_e32 v52, v52, v53
	v_fmac_f16_e32 v41, 0xb8b4, v42
	v_fmac_f16_e32 v2, -0.5, v55
	v_sub_f16_e32 v53, v18, v21
	v_sub_f16_e32 v55, v19, v25
	v_fmac_f16_e32 v49, 0x34f2, v27
	v_fmac_f16_e32 v9, 0x34f2, v27
	v_add_f16_e32 v27, v28, v25
	v_fmac_f16_e32 v40, 0x34f2, v52
	v_fmac_f16_e32 v41, 0x34f2, v52
	v_fmamk_f16 v28, v42, 0xbb9c, v2
	v_add_f16_e32 v52, v16, v17
	v_fmac_f16_e32 v2, 0x3b9c, v42
	v_sub_f16_e32 v21, v21, v25
	v_add_f16_e32 v25, v53, v55
	v_add_f16_e32 v53, v14, v15
	;; [unrolled: 1-line block ×3, first 2 shown]
	v_fma_f16 v52, -0.5, v52, v8
	v_fmac_f16_e32 v28, 0x38b4, v50
	v_fmac_f16_e32 v2, 0xb8b4, v50
	v_sub_f16_e32 v18, v18, v19
	v_fmac_f16_e32 v8, -0.5, v53
	v_add_f16_e32 v42, v42, v16
	v_fmac_f16_e32 v28, 0x34f2, v25
	v_fmac_f16_e32 v2, 0x34f2, v25
	v_sub_f16_e32 v25, v14, v16
	v_fmamk_f16 v53, v18, 0x3b9c, v8
	v_sub_f16_e32 v14, v16, v14
	v_sub_f16_e32 v16, v17, v15
	v_fmac_f16_e32 v8, 0xbb9c, v18
	v_sub_f16_e32 v84, v90, v93
	v_fma_f16 v65, -0.5, v83, v6
	v_fmamk_f16 v34, v67, 0x3b9c, v57
	v_sub_f16_e32 v85, v91, v92
	v_fmac_f16_e32 v6, -0.5, v94
	v_fmamk_f16 v80, v68, 0xbb9c, v7
	v_fmamk_f16 v50, v21, 0xbb9c, v52
	v_add_f16_e32 v19, v42, v17
	v_sub_f16_e32 v42, v15, v17
	v_fmac_f16_e32 v52, 0x3b9c, v21
	v_fmac_f16_e32 v7, 0x3b9c, v68
	;; [unrolled: 1-line block ×3, first 2 shown]
	v_add_f16_e32 v58, v69, v70
	v_add_f16_e32 v70, v99, v91
	v_fmac_f16_e32 v53, 0xb8b4, v21
	v_add_f16_e32 v14, v14, v16
	v_fmac_f16_e32 v8, 0x38b4, v21
	v_sub_f16_e32 v102, v90, v91
	v_sub_f16_e32 v103, v93, v92
	v_fmamk_f16 v38, v84, 0x3b9c, v65
	v_fmac_f16_e32 v34, 0x38b4, v68
	v_fmac_f16_e32 v81, 0xb8b4, v76
	v_sub_f16_e32 v90, v91, v90
	v_sub_f16_e32 v106, v92, v93
	v_add_f16_e32 v60, v72, v73
	v_fmamk_f16 v83, v85, 0xbb9c, v6
	v_fmac_f16_e32 v80, 0x38b4, v67
	v_fmac_f16_e32 v79, 0x34f2, v56
	;; [unrolled: 1-line block ×3, first 2 shown]
	v_add_f16_e32 v17, v25, v42
	v_fmac_f16_e32 v52, 0x38b4, v18
	v_fmac_f16_e32 v6, 0x3b9c, v85
	;; [unrolled: 1-line block ×7, first 2 shown]
	v_add_f16_e32 v70, v70, v92
	v_add_f16_e32 v33, v61, v89
	v_fmac_f16_e32 v53, 0x34f2, v14
	v_fmac_f16_e32 v8, 0x34f2, v14
	v_pack_b32_f16 v14, v30, v32
	v_add_f16_e32 v72, v102, v103
	v_fmac_f16_e32 v38, 0x38b4, v85
	v_fmac_f16_e32 v86, 0xb8b4, v101
	;; [unrolled: 1-line block ×4, first 2 shown]
	v_pack_b32_f16 v16, v31, v78
	v_add_f16_e32 v69, v95, v98
	v_add_f16_e32 v73, v90, v106
	v_fmac_f16_e32 v83, 0x38b4, v84
	v_fmac_f16_e32 v80, 0x34f2, v60
	v_fmac_f16_e32 v82, 0x34f2, v64
	v_fmac_f16_e32 v50, 0x34f2, v17
	v_fmac_f16_e32 v52, 0x34f2, v17
	v_pack_b32_f16 v17, v77, v79
	v_fmac_f16_e32 v6, 0xb8b4, v84
	v_fmac_f16_e32 v7, 0x34f2, v60
	;; [unrolled: 1-line block ×3, first 2 shown]
	v_pack_b32_f16 v11, v11, v13
	v_fmac_f16_e32 v65, 0xb8b4, v85
	v_fmac_f16_e32 v71, 0x38b4, v101
	;; [unrolled: 1-line block ×4, first 2 shown]
	v_pack_b32_f16 v13, v48, v54
	v_add_f16_e32 v37, v70, v93
	ds_store_b32 v45, v14
	ds_store_b32 v45, v16 offset:1800
	ds_store_b32 v45, v17 offset:3600
	;; [unrolled: 1-line block ×4, first 2 shown]
	v_pack_b32_f16 v11, v29, v33
	v_fmac_f16_e32 v38, 0x34f2, v66
	v_fmac_f16_e32 v86, 0x34f2, v72
	v_pack_b32_f16 v13, v34, v81
	v_fmac_f16_e32 v83, 0x34f2, v69
	v_fmac_f16_e32 v87, 0x34f2, v73
	;; [unrolled: 3-line block ×4, first 2 shown]
	v_pack_b32_f16 v12, v57, v62
	v_add_f16_e32 v36, v36, v97
	v_add_f16_e32 v15, v19, v15
	ds_store_b32 v47, v11
	ds_store_b32 v47, v13 offset:1800
	ds_store_b32 v47, v14 offset:3600
	;; [unrolled: 1-line block ×4, first 2 shown]
	v_pack_b32_f16 v7, v35, v37
	v_pack_b32_f16 v11, v38, v86
	;; [unrolled: 1-line block ×5, first 2 shown]
	ds_store_b32 v46, v7
	ds_store_b32 v46, v11 offset:1800
	ds_store_b32 v46, v12 offset:3600
	;; [unrolled: 1-line block ×4, first 2 shown]
	v_pack_b32_f16 v6, v39, v36
	v_pack_b32_f16 v11, v27, v15
	;; [unrolled: 1-line block ×4, first 2 shown]
	v_add_nc_u32_e32 v13, 0xa00, v45
	v_pack_b32_f16 v10, v44, v49
	v_pack_b32_f16 v14, v28, v53
	v_pack_b32_f16 v1, v1, v9
	v_pack_b32_f16 v2, v2, v8
	v_add_nc_u32_e32 v8, 0x1800, v45
	v_pack_b32_f16 v9, v75, v51
	v_pack_b32_f16 v15, v41, v52
	ds_store_2addr_b32 v3, v6, v11 offset0:14 offset1:104
	ds_store_2addr_b32 v13, v7, v12 offset0:80 offset1:170
	;; [unrolled: 1-line block ×5, first 2 shown]
	global_wb scope:SCOPE_SE
	s_wait_dscnt 0x0
	s_barrier_signal -1
	s_barrier_wait -1
	global_inv scope:SCOPE_SE
	ds_load_b32 v2, v45
	v_sub_nc_u32_e32 v4, 0, v0
                                        ; implicit-def: $vgpr7
                                        ; implicit-def: $vgpr6
                                        ; implicit-def: $vgpr5
                                        ; implicit-def: $vgpr0_vgpr1
	s_wait_dscnt 0x0
	v_lshrrev_b32_e32 v3, 16, v2
	v_cmpx_ne_u32_e32 0, v20
	s_wait_alu 0xfffe
	s_xor_b32 s2, exec_lo, s2
	s_cbranch_execz .LBB0_25
; %bb.24:
	v_mov_b32_e32 v21, 0
	s_delay_alu instid0(VALU_DEP_1) | instskip(NEXT) | instid1(VALU_DEP_1)
	v_lshlrev_b64_e32 v[0:1], 2, v[20:21]
	v_add_co_u32 v0, s1, s4, v0
	s_wait_alu 0xf1ff
	s_delay_alu instid0(VALU_DEP_2)
	v_add_co_ci_u32_e64 v1, s1, s5, v1, s1
	global_load_b32 v0, v[0:1], off offset:8960
	ds_load_b32 v1, v4 offset:9000
	s_wait_dscnt 0x0
	v_lshrrev_b32_e32 v5, 16, v1
	v_sub_f16_e32 v6, v2, v1
	v_add_f16_e32 v1, v1, v2
	s_delay_alu instid0(VALU_DEP_3) | instskip(SKIP_1) | instid1(VALU_DEP_4)
	v_add_f16_e32 v7, v5, v3
	v_sub_f16_e32 v3, v3, v5
	v_mul_f16_e32 v8, 0.5, v6
	s_delay_alu instid0(VALU_DEP_3) | instskip(NEXT) | instid1(VALU_DEP_3)
	v_mul_f16_e32 v2, 0.5, v7
	v_mul_f16_e32 v3, 0.5, v3
	s_wait_loadcnt 0x0
	v_lshrrev_b32_e32 v5, 16, v0
	s_delay_alu instid0(VALU_DEP_1) | instskip(NEXT) | instid1(VALU_DEP_3)
	v_mul_f16_e32 v6, v5, v8
	v_fma_f16 v7, v2, v5, v3
	v_fma_f16 v3, v2, v5, -v3
	s_delay_alu instid0(VALU_DEP_3) | instskip(SKIP_1) | instid1(VALU_DEP_4)
	v_fma_f16 v9, 0.5, v1, v6
	v_fma_f16 v1, v1, 0.5, -v6
	v_fma_f16 v5, -v0, v8, v7
	s_delay_alu instid0(VALU_DEP_4) | instskip(NEXT) | instid1(VALU_DEP_4)
	v_fma_f16 v7, -v0, v8, v3
                                        ; implicit-def: $vgpr3
	v_fmac_f16_e32 v9, v0, v2
	s_delay_alu instid0(VALU_DEP_4)
	v_fma_f16 v6, -v0, v2, v1
	v_dual_mov_b32 v0, v20 :: v_dual_mov_b32 v1, v21
                                        ; implicit-def: $vgpr2
	ds_store_b16 v45, v9
.LBB0_25:
	s_wait_alu 0xfffe
	s_and_not1_saveexec_b32 s1, s2
	s_cbranch_execz .LBB0_27
; %bb.26:
	v_mov_b32_e32 v5, 0
	v_add_f16_e32 v8, v3, v2
	v_sub_f16_e32 v6, v2, v3
	v_mov_b32_e32 v7, 0
	ds_load_u16 v0, v5 offset:4502
	s_wait_dscnt 0x0
	v_xor_b32_e32 v2, 0x8000, v0
	v_mov_b32_e32 v0, 0
	v_mov_b32_e32 v1, 0
	ds_store_b16 v45, v8
	ds_store_b16 v5, v2 offset:4502
.LBB0_27:
	s_wait_alu 0xfffe
	s_or_b32 exec_lo, exec_lo, s1
	v_mov_b32_e32 v25, 0
	v_lshlrev_b64_e32 v[0:1], 2, v[0:1]
	s_add_nc_u64 s[2:3], s[4:5], 0x2300
	v_perm_b32 v6, v7, v6, 0x5040100
	s_delay_alu instid0(VALU_DEP_3) | instskip(SKIP_1) | instid1(VALU_DEP_2)
	v_lshlrev_b64_e32 v[2:3], 2, v[24:25]
	v_mov_b32_e32 v27, v25
	v_add_co_u32 v2, s1, s4, v2
	s_wait_alu 0xf1ff
	s_delay_alu instid0(VALU_DEP_3) | instskip(SKIP_2) | instid1(VALU_DEP_1)
	v_add_co_ci_u32_e64 v3, s1, s5, v3, s1
	global_load_b32 v8, v[2:3], off offset:8960
	v_lshlrev_b64_e32 v[2:3], 2, v[26:27]
	v_add_co_u32 v2, s1, s4, v2
	s_wait_alu 0xf1ff
	s_delay_alu instid0(VALU_DEP_2)
	v_add_co_ci_u32_e64 v3, s1, s5, v3, s1
	global_load_b32 v9, v[2:3], off offset:8960
	s_wait_alu 0xfffe
	v_add_co_u32 v2, s1, s2, v0
	s_wait_alu 0xf1ff
	v_add_co_ci_u32_e64 v3, s1, s3, v1, s1
	s_clause 0x2
	global_load_b32 v10, v[2:3], off offset:1080
	global_load_b32 v11, v[2:3], off offset:1440
	;; [unrolled: 1-line block ×3, first 2 shown]
	ds_store_b16 v45, v5 offset:2
	ds_store_b32 v4, v6 offset:9000
	ds_load_b32 v5, v4 offset:8640
	ds_load_b32 v6, v47
	global_load_b32 v7, v[2:3], off offset:2160
	s_wait_dscnt 0x0
	v_pk_add_f16 v13, v6, v5 neg_lo:[0,1] neg_hi:[0,1]
	v_pk_add_f16 v5, v6, v5
	s_delay_alu instid0(VALU_DEP_1) | instskip(SKIP_1) | instid1(VALU_DEP_2)
	v_bfi_b32 v6, 0xffff, v13, v5
	v_bfi_b32 v5, 0xffff, v5, v13
	v_pk_mul_f16 v6, v6, 0.5 op_sel_hi:[1,0]
	s_delay_alu instid0(VALU_DEP_2) | instskip(SKIP_1) | instid1(VALU_DEP_1)
	v_pk_mul_f16 v5, v5, 0.5 op_sel_hi:[1,0]
	s_wait_loadcnt 0x5
	v_pk_fma_f16 v13, v8, v6, v5 op_sel:[1,0,0]
	v_pk_mul_f16 v14, v8, v6 op_sel_hi:[0,1]
	v_pk_fma_f16 v15, v8, v6, v5 op_sel:[1,0,0] neg_lo:[1,0,0] neg_hi:[1,0,0]
	v_pk_fma_f16 v5, v8, v6, v5 op_sel:[1,0,0] neg_lo:[0,0,1] neg_hi:[0,0,1]
	s_delay_alu instid0(VALU_DEP_3) | instskip(SKIP_1) | instid1(VALU_DEP_4)
	v_pk_add_f16 v6, v13, v14 op_sel:[0,1] op_sel_hi:[1,0]
	v_pk_add_f16 v8, v13, v14 op_sel:[0,1] op_sel_hi:[1,0] neg_lo:[0,1] neg_hi:[0,1]
	v_pk_add_f16 v13, v15, v14 op_sel:[0,1] op_sel_hi:[1,0] neg_lo:[0,1] neg_hi:[0,1]
	s_delay_alu instid0(VALU_DEP_4) | instskip(NEXT) | instid1(VALU_DEP_3)
	v_pk_add_f16 v5, v5, v14 op_sel:[0,1] op_sel_hi:[1,0] neg_lo:[0,1] neg_hi:[0,1]
	v_bfi_b32 v6, 0xffff, v6, v8
	s_delay_alu instid0(VALU_DEP_2)
	v_bfi_b32 v5, 0xffff, v13, v5
	ds_store_b32 v47, v6
	ds_store_b32 v4, v5 offset:8640
	ds_load_b32 v5, v46
	ds_load_b32 v6, v4 offset:8280
	global_load_b32 v8, v[2:3], off offset:2520
	s_wait_dscnt 0x0
	v_pk_add_f16 v13, v5, v6 neg_lo:[0,1] neg_hi:[0,1]
	v_pk_add_f16 v5, v5, v6
	s_delay_alu instid0(VALU_DEP_1) | instskip(SKIP_1) | instid1(VALU_DEP_2)
	v_bfi_b32 v6, 0xffff, v13, v5
	v_bfi_b32 v5, 0xffff, v5, v13
	v_pk_mul_f16 v6, v6, 0.5 op_sel_hi:[1,0]
	s_delay_alu instid0(VALU_DEP_2) | instskip(SKIP_1) | instid1(VALU_DEP_2)
	v_pk_mul_f16 v5, v5, 0.5 op_sel_hi:[1,0]
	s_wait_loadcnt 0x5
	v_pk_mul_f16 v14, v9, v6 op_sel_hi:[0,1]
	s_delay_alu instid0(VALU_DEP_2) | instskip(SKIP_2) | instid1(VALU_DEP_3)
	v_pk_fma_f16 v13, v9, v6, v5 op_sel:[1,0,0]
	v_pk_fma_f16 v15, v9, v6, v5 op_sel:[1,0,0] neg_lo:[1,0,0] neg_hi:[1,0,0]
	v_pk_fma_f16 v5, v9, v6, v5 op_sel:[1,0,0] neg_lo:[0,0,1] neg_hi:[0,0,1]
	v_pk_add_f16 v6, v13, v14 op_sel:[0,1] op_sel_hi:[1,0]
	v_pk_add_f16 v9, v13, v14 op_sel:[0,1] op_sel_hi:[1,0] neg_lo:[0,1] neg_hi:[0,1]
	s_delay_alu instid0(VALU_DEP_4) | instskip(NEXT) | instid1(VALU_DEP_4)
	v_pk_add_f16 v13, v15, v14 op_sel:[0,1] op_sel_hi:[1,0] neg_lo:[0,1] neg_hi:[0,1]
	v_pk_add_f16 v5, v5, v14 op_sel:[0,1] op_sel_hi:[1,0] neg_lo:[0,1] neg_hi:[0,1]
	s_delay_alu instid0(VALU_DEP_3) | instskip(NEXT) | instid1(VALU_DEP_2)
	v_bfi_b32 v6, 0xffff, v6, v9
	v_bfi_b32 v5, 0xffff, v13, v5
	ds_store_b32 v46, v6
	ds_store_b32 v4, v5 offset:8280
	ds_load_b32 v5, v45 offset:1080
	ds_load_b32 v6, v4 offset:7920
	global_load_b32 v9, v[2:3], off offset:2880
	s_wait_dscnt 0x0
	v_pk_add_f16 v13, v5, v6 neg_lo:[0,1] neg_hi:[0,1]
	v_pk_add_f16 v5, v5, v6
	s_delay_alu instid0(VALU_DEP_1)
	v_bfi_b32 v6, 0xffff, v13, v5
	v_bfi_b32 v5, 0xffff, v5, v13
	s_clause 0x1
	global_load_b32 v13, v[2:3], off offset:3240
	global_load_b32 v14, v[2:3], off offset:3600
	v_pk_mul_f16 v6, v6, 0.5 op_sel_hi:[1,0]
	v_pk_mul_f16 v5, v5, 0.5 op_sel_hi:[1,0]
	s_wait_loadcnt 0x7
	s_delay_alu instid0(VALU_DEP_2) | instskip(NEXT) | instid1(VALU_DEP_2)
	v_pk_mul_f16 v16, v10, v6 op_sel_hi:[0,1]
	v_pk_fma_f16 v15, v10, v6, v5 op_sel:[1,0,0]
	v_pk_fma_f16 v17, v10, v6, v5 op_sel:[1,0,0] neg_lo:[1,0,0] neg_hi:[1,0,0]
	v_pk_fma_f16 v5, v10, v6, v5 op_sel:[1,0,0] neg_lo:[0,0,1] neg_hi:[0,0,1]
	s_delay_alu instid0(VALU_DEP_3) | instskip(SKIP_1) | instid1(VALU_DEP_4)
	v_pk_add_f16 v6, v15, v16 op_sel:[0,1] op_sel_hi:[1,0]
	v_pk_add_f16 v10, v15, v16 op_sel:[0,1] op_sel_hi:[1,0] neg_lo:[0,1] neg_hi:[0,1]
	v_pk_add_f16 v15, v17, v16 op_sel:[0,1] op_sel_hi:[1,0] neg_lo:[0,1] neg_hi:[0,1]
	s_delay_alu instid0(VALU_DEP_4) | instskip(NEXT) | instid1(VALU_DEP_3)
	v_pk_add_f16 v5, v5, v16 op_sel:[0,1] op_sel_hi:[1,0] neg_lo:[0,1] neg_hi:[0,1]
	v_bfi_b32 v6, 0xffff, v6, v10
	s_delay_alu instid0(VALU_DEP_2)
	v_bfi_b32 v5, 0xffff, v15, v5
	ds_store_b32 v45, v6 offset:1080
	ds_store_b32 v4, v5 offset:7920
	ds_load_b32 v5, v45 offset:1440
	ds_load_b32 v6, v4 offset:7560
	s_wait_dscnt 0x0
	v_pk_add_f16 v10, v5, v6 neg_lo:[0,1] neg_hi:[0,1]
	v_pk_add_f16 v5, v5, v6
	s_delay_alu instid0(VALU_DEP_1) | instskip(SKIP_1) | instid1(VALU_DEP_2)
	v_bfi_b32 v6, 0xffff, v10, v5
	v_bfi_b32 v5, 0xffff, v5, v10
	v_pk_mul_f16 v6, v6, 0.5 op_sel_hi:[1,0]
	s_delay_alu instid0(VALU_DEP_2) | instskip(SKIP_1) | instid1(VALU_DEP_2)
	v_pk_mul_f16 v5, v5, 0.5 op_sel_hi:[1,0]
	s_wait_loadcnt 0x6
	v_pk_mul_f16 v15, v11, v6 op_sel_hi:[0,1]
	s_delay_alu instid0(VALU_DEP_2) | instskip(SKIP_2) | instid1(VALU_DEP_3)
	v_pk_fma_f16 v10, v11, v6, v5 op_sel:[1,0,0]
	v_pk_fma_f16 v16, v11, v6, v5 op_sel:[1,0,0] neg_lo:[1,0,0] neg_hi:[1,0,0]
	v_pk_fma_f16 v5, v11, v6, v5 op_sel:[1,0,0] neg_lo:[0,0,1] neg_hi:[0,0,1]
	v_pk_add_f16 v6, v10, v15 op_sel:[0,1] op_sel_hi:[1,0]
	v_pk_add_f16 v10, v10, v15 op_sel:[0,1] op_sel_hi:[1,0] neg_lo:[0,1] neg_hi:[0,1]
	s_delay_alu instid0(VALU_DEP_4) | instskip(NEXT) | instid1(VALU_DEP_4)
	v_pk_add_f16 v11, v16, v15 op_sel:[0,1] op_sel_hi:[1,0] neg_lo:[0,1] neg_hi:[0,1]
	v_pk_add_f16 v5, v5, v15 op_sel:[0,1] op_sel_hi:[1,0] neg_lo:[0,1] neg_hi:[0,1]
	s_delay_alu instid0(VALU_DEP_3) | instskip(NEXT) | instid1(VALU_DEP_2)
	v_bfi_b32 v6, 0xffff, v6, v10
	v_bfi_b32 v5, 0xffff, v11, v5
	ds_store_b32 v45, v6 offset:1440
	ds_store_b32 v4, v5 offset:7560
	ds_load_b32 v5, v45 offset:1800
	ds_load_b32 v6, v4 offset:7200
	s_wait_dscnt 0x0
	v_pk_add_f16 v10, v5, v6 neg_lo:[0,1] neg_hi:[0,1]
	v_pk_add_f16 v5, v5, v6
	s_delay_alu instid0(VALU_DEP_1) | instskip(SKIP_1) | instid1(VALU_DEP_2)
	v_bfi_b32 v6, 0xffff, v10, v5
	v_bfi_b32 v5, 0xffff, v5, v10
	v_pk_mul_f16 v6, v6, 0.5 op_sel_hi:[1,0]
	s_delay_alu instid0(VALU_DEP_2) | instskip(SKIP_1) | instid1(VALU_DEP_2)
	v_pk_mul_f16 v5, v5, 0.5 op_sel_hi:[1,0]
	s_wait_loadcnt 0x5
	v_pk_mul_f16 v11, v12, v6 op_sel_hi:[0,1]
	s_delay_alu instid0(VALU_DEP_2) | instskip(SKIP_2) | instid1(VALU_DEP_3)
	v_pk_fma_f16 v10, v12, v6, v5 op_sel:[1,0,0]
	v_pk_fma_f16 v15, v12, v6, v5 op_sel:[1,0,0] neg_lo:[1,0,0] neg_hi:[1,0,0]
	v_pk_fma_f16 v5, v12, v6, v5 op_sel:[1,0,0] neg_lo:[0,0,1] neg_hi:[0,0,1]
	v_pk_add_f16 v6, v10, v11 op_sel:[0,1] op_sel_hi:[1,0]
	v_pk_add_f16 v10, v10, v11 op_sel:[0,1] op_sel_hi:[1,0] neg_lo:[0,1] neg_hi:[0,1]
	s_delay_alu instid0(VALU_DEP_4) | instskip(NEXT) | instid1(VALU_DEP_4)
	v_pk_add_f16 v12, v15, v11 op_sel:[0,1] op_sel_hi:[1,0] neg_lo:[0,1] neg_hi:[0,1]
	v_pk_add_f16 v5, v5, v11 op_sel:[0,1] op_sel_hi:[1,0] neg_lo:[0,1] neg_hi:[0,1]
	s_delay_alu instid0(VALU_DEP_3) | instskip(NEXT) | instid1(VALU_DEP_2)
	v_bfi_b32 v6, 0xffff, v6, v10
	v_bfi_b32 v5, 0xffff, v12, v5
	ds_store_b32 v45, v6 offset:1800
	ds_store_b32 v4, v5 offset:7200
	ds_load_b32 v5, v45 offset:2160
	ds_load_b32 v6, v4 offset:6840
	global_load_b32 v10, v[2:3], off offset:3960
	s_wait_dscnt 0x0
	v_pk_add_f16 v11, v5, v6 neg_lo:[0,1] neg_hi:[0,1]
	v_pk_add_f16 v5, v5, v6
	s_delay_alu instid0(VALU_DEP_1) | instskip(SKIP_1) | instid1(VALU_DEP_2)
	v_bfi_b32 v6, 0xffff, v11, v5
	v_bfi_b32 v5, 0xffff, v5, v11
	v_pk_mul_f16 v6, v6, 0.5 op_sel_hi:[1,0]
	s_delay_alu instid0(VALU_DEP_2) | instskip(SKIP_1) | instid1(VALU_DEP_2)
	v_pk_mul_f16 v5, v5, 0.5 op_sel_hi:[1,0]
	s_wait_loadcnt 0x5
	v_pk_mul_f16 v12, v7, v6 op_sel_hi:[0,1]
	s_delay_alu instid0(VALU_DEP_2) | instskip(SKIP_2) | instid1(VALU_DEP_3)
	v_pk_fma_f16 v11, v7, v6, v5 op_sel:[1,0,0]
	v_pk_fma_f16 v15, v7, v6, v5 op_sel:[1,0,0] neg_lo:[1,0,0] neg_hi:[1,0,0]
	v_pk_fma_f16 v5, v7, v6, v5 op_sel:[1,0,0] neg_lo:[0,0,1] neg_hi:[0,0,1]
	v_pk_add_f16 v6, v11, v12 op_sel:[0,1] op_sel_hi:[1,0]
	v_pk_add_f16 v7, v11, v12 op_sel:[0,1] op_sel_hi:[1,0] neg_lo:[0,1] neg_hi:[0,1]
	s_delay_alu instid0(VALU_DEP_4) | instskip(NEXT) | instid1(VALU_DEP_4)
	v_pk_add_f16 v11, v15, v12 op_sel:[0,1] op_sel_hi:[1,0] neg_lo:[0,1] neg_hi:[0,1]
	v_pk_add_f16 v5, v5, v12 op_sel:[0,1] op_sel_hi:[1,0] neg_lo:[0,1] neg_hi:[0,1]
	s_delay_alu instid0(VALU_DEP_3) | instskip(NEXT) | instid1(VALU_DEP_2)
	v_bfi_b32 v6, 0xffff, v6, v7
	v_bfi_b32 v5, 0xffff, v11, v5
	ds_store_b32 v45, v6 offset:2160
	ds_store_b32 v4, v5 offset:6840
	ds_load_b32 v5, v45 offset:2520
	ds_load_b32 v6, v4 offset:6480
	s_wait_dscnt 0x0
	v_pk_add_f16 v7, v5, v6 neg_lo:[0,1] neg_hi:[0,1]
	v_pk_add_f16 v5, v5, v6
	s_delay_alu instid0(VALU_DEP_1) | instskip(SKIP_1) | instid1(VALU_DEP_2)
	v_bfi_b32 v6, 0xffff, v7, v5
	v_bfi_b32 v5, 0xffff, v5, v7
	v_pk_mul_f16 v6, v6, 0.5 op_sel_hi:[1,0]
	s_delay_alu instid0(VALU_DEP_2) | instskip(SKIP_1) | instid1(VALU_DEP_1)
	v_pk_mul_f16 v5, v5, 0.5 op_sel_hi:[1,0]
	s_wait_loadcnt 0x4
	v_pk_fma_f16 v7, v8, v6, v5 op_sel:[1,0,0]
	v_pk_mul_f16 v11, v8, v6 op_sel_hi:[0,1]
	v_pk_fma_f16 v12, v8, v6, v5 op_sel:[1,0,0] neg_lo:[1,0,0] neg_hi:[1,0,0]
	v_pk_fma_f16 v5, v8, v6, v5 op_sel:[1,0,0] neg_lo:[0,0,1] neg_hi:[0,0,1]
	s_delay_alu instid0(VALU_DEP_3) | instskip(SKIP_1) | instid1(VALU_DEP_4)
	v_pk_add_f16 v6, v7, v11 op_sel:[0,1] op_sel_hi:[1,0]
	v_pk_add_f16 v7, v7, v11 op_sel:[0,1] op_sel_hi:[1,0] neg_lo:[0,1] neg_hi:[0,1]
	v_pk_add_f16 v8, v12, v11 op_sel:[0,1] op_sel_hi:[1,0] neg_lo:[0,1] neg_hi:[0,1]
	s_delay_alu instid0(VALU_DEP_4) | instskip(NEXT) | instid1(VALU_DEP_3)
	v_pk_add_f16 v5, v5, v11 op_sel:[0,1] op_sel_hi:[1,0] neg_lo:[0,1] neg_hi:[0,1]
	v_bfi_b32 v6, 0xffff, v6, v7
	s_delay_alu instid0(VALU_DEP_2)
	v_bfi_b32 v5, 0xffff, v8, v5
	ds_store_b32 v45, v6 offset:2520
	ds_store_b32 v4, v5 offset:6480
	ds_load_b32 v5, v45 offset:2880
	ds_load_b32 v6, v4 offset:6120
	s_wait_dscnt 0x0
	v_pk_add_f16 v7, v5, v6 neg_lo:[0,1] neg_hi:[0,1]
	v_pk_add_f16 v5, v5, v6
	s_delay_alu instid0(VALU_DEP_1) | instskip(SKIP_1) | instid1(VALU_DEP_2)
	v_bfi_b32 v6, 0xffff, v7, v5
	v_bfi_b32 v5, 0xffff, v5, v7
	v_pk_mul_f16 v6, v6, 0.5 op_sel_hi:[1,0]
	s_delay_alu instid0(VALU_DEP_2) | instskip(SKIP_1) | instid1(VALU_DEP_2)
	v_pk_mul_f16 v5, v5, 0.5 op_sel_hi:[1,0]
	s_wait_loadcnt 0x3
	v_pk_mul_f16 v8, v9, v6 op_sel_hi:[0,1]
	s_delay_alu instid0(VALU_DEP_2) | instskip(SKIP_2) | instid1(VALU_DEP_3)
	v_pk_fma_f16 v7, v9, v6, v5 op_sel:[1,0,0]
	v_pk_fma_f16 v11, v9, v6, v5 op_sel:[1,0,0] neg_lo:[1,0,0] neg_hi:[1,0,0]
	v_pk_fma_f16 v5, v9, v6, v5 op_sel:[1,0,0] neg_lo:[0,0,1] neg_hi:[0,0,1]
	v_pk_add_f16 v6, v7, v8 op_sel:[0,1] op_sel_hi:[1,0]
	v_pk_add_f16 v7, v7, v8 op_sel:[0,1] op_sel_hi:[1,0] neg_lo:[0,1] neg_hi:[0,1]
	s_delay_alu instid0(VALU_DEP_4) | instskip(NEXT) | instid1(VALU_DEP_4)
	v_pk_add_f16 v9, v11, v8 op_sel:[0,1] op_sel_hi:[1,0] neg_lo:[0,1] neg_hi:[0,1]
	v_pk_add_f16 v5, v5, v8 op_sel:[0,1] op_sel_hi:[1,0] neg_lo:[0,1] neg_hi:[0,1]
	s_delay_alu instid0(VALU_DEP_3) | instskip(NEXT) | instid1(VALU_DEP_2)
	v_bfi_b32 v6, 0xffff, v6, v7
	v_bfi_b32 v5, 0xffff, v9, v5
	ds_store_b32 v45, v6 offset:2880
	ds_store_b32 v4, v5 offset:6120
	ds_load_b32 v5, v45 offset:3240
	ds_load_b32 v6, v4 offset:5760
	s_wait_dscnt 0x0
	v_pk_add_f16 v7, v5, v6 neg_lo:[0,1] neg_hi:[0,1]
	v_pk_add_f16 v5, v5, v6
	s_delay_alu instid0(VALU_DEP_1) | instskip(SKIP_1) | instid1(VALU_DEP_2)
	v_bfi_b32 v6, 0xffff, v7, v5
	v_bfi_b32 v5, 0xffff, v5, v7
	v_pk_mul_f16 v6, v6, 0.5 op_sel_hi:[1,0]
	s_delay_alu instid0(VALU_DEP_2) | instskip(SKIP_1) | instid1(VALU_DEP_2)
	v_pk_mul_f16 v5, v5, 0.5 op_sel_hi:[1,0]
	s_wait_loadcnt 0x2
	v_pk_mul_f16 v8, v13, v6 op_sel_hi:[0,1]
	s_delay_alu instid0(VALU_DEP_2) | instskip(SKIP_2) | instid1(VALU_DEP_3)
	v_pk_fma_f16 v7, v13, v6, v5 op_sel:[1,0,0]
	v_pk_fma_f16 v9, v13, v6, v5 op_sel:[1,0,0] neg_lo:[1,0,0] neg_hi:[1,0,0]
	v_pk_fma_f16 v5, v13, v6, v5 op_sel:[1,0,0] neg_lo:[0,0,1] neg_hi:[0,0,1]
	v_pk_add_f16 v6, v7, v8 op_sel:[0,1] op_sel_hi:[1,0]
	v_pk_add_f16 v7, v7, v8 op_sel:[0,1] op_sel_hi:[1,0] neg_lo:[0,1] neg_hi:[0,1]
	s_delay_alu instid0(VALU_DEP_4) | instskip(NEXT) | instid1(VALU_DEP_4)
	v_pk_add_f16 v9, v9, v8 op_sel:[0,1] op_sel_hi:[1,0] neg_lo:[0,1] neg_hi:[0,1]
	v_pk_add_f16 v5, v5, v8 op_sel:[0,1] op_sel_hi:[1,0] neg_lo:[0,1] neg_hi:[0,1]
	s_delay_alu instid0(VALU_DEP_3) | instskip(NEXT) | instid1(VALU_DEP_2)
	v_bfi_b32 v6, 0xffff, v6, v7
	;; [unrolled: 27-line block ×4, first 2 shown]
	v_bfi_b32 v5, 0xffff, v9, v5
	ds_store_b32 v45, v6 offset:3960
	ds_store_b32 v4, v5 offset:5040
	s_and_saveexec_b32 s1, s0
	s_cbranch_execz .LBB0_29
; %bb.28:
	global_load_b32 v2, v[2:3], off offset:4320
	ds_load_b32 v3, v45 offset:4320
	ds_load_b32 v5, v4 offset:4680
	s_wait_dscnt 0x0
	v_pk_add_f16 v6, v3, v5 neg_lo:[0,1] neg_hi:[0,1]
	v_pk_add_f16 v3, v3, v5
	s_delay_alu instid0(VALU_DEP_1) | instskip(SKIP_1) | instid1(VALU_DEP_2)
	v_bfi_b32 v5, 0xffff, v6, v3
	v_bfi_b32 v3, 0xffff, v3, v6
	v_pk_mul_f16 v5, v5, 0.5 op_sel_hi:[1,0]
	s_delay_alu instid0(VALU_DEP_2) | instskip(SKIP_1) | instid1(VALU_DEP_1)
	v_pk_mul_f16 v3, v3, 0.5 op_sel_hi:[1,0]
	s_wait_loadcnt 0x0
	v_pk_fma_f16 v6, v2, v5, v3 op_sel:[1,0,0]
	v_pk_mul_f16 v7, v2, v5 op_sel_hi:[0,1]
	v_pk_fma_f16 v8, v2, v5, v3 op_sel:[1,0,0] neg_lo:[1,0,0] neg_hi:[1,0,0]
	v_pk_fma_f16 v2, v2, v5, v3 op_sel:[1,0,0] neg_lo:[0,0,1] neg_hi:[0,0,1]
	s_delay_alu instid0(VALU_DEP_3) | instskip(SKIP_1) | instid1(VALU_DEP_4)
	v_pk_add_f16 v3, v6, v7 op_sel:[0,1] op_sel_hi:[1,0]
	v_pk_add_f16 v5, v6, v7 op_sel:[0,1] op_sel_hi:[1,0] neg_lo:[0,1] neg_hi:[0,1]
	v_pk_add_f16 v6, v8, v7 op_sel:[0,1] op_sel_hi:[1,0] neg_lo:[0,1] neg_hi:[0,1]
	s_delay_alu instid0(VALU_DEP_4) | instskip(NEXT) | instid1(VALU_DEP_3)
	v_pk_add_f16 v2, v2, v7 op_sel:[0,1] op_sel_hi:[1,0] neg_lo:[0,1] neg_hi:[0,1]
	v_bfi_b32 v3, 0xffff, v3, v5
	s_delay_alu instid0(VALU_DEP_2)
	v_bfi_b32 v2, 0xffff, v6, v2
	ds_store_b32 v45, v3 offset:4320
	ds_store_b32 v4, v2 offset:4680
.LBB0_29:
	s_wait_alu 0xfffe
	s_or_b32 exec_lo, exec_lo, s1
	global_wb scope:SCOPE_SE
	s_wait_dscnt 0x0
	s_barrier_signal -1
	s_barrier_wait -1
	global_inv scope:SCOPE_SE
	s_and_saveexec_b32 s0, vcc_lo
	s_cbranch_execz .LBB0_32
; %bb.30:
	v_add_co_u32 v2, vcc_lo, s8, v22
	v_add_nc_u32_e32 v6, 0x200, v45
	v_add_nc_u32_e32 v8, 0x400, v45
	v_add_nc_u32_e32 v18, 0x1200, v45
	v_add_nc_u32_e32 v10, 0x800, v45
	v_add_nc_u32_e32 v21, 0x1400, v45
	s_wait_alu 0xfffd
	v_add_co_ci_u32_e32 v3, vcc_lo, s9, v23, vcc_lo
	v_add_nc_u32_e32 v12, 0xa00, v45
	v_add_nc_u32_e32 v23, 0x1800, v45
	;; [unrolled: 1-line block ×6, first 2 shown]
	ds_load_2addr_b32 v[4:5], v45 offset1:90
	ds_load_2addr_b32 v[6:7], v6 offset0:52 offset1:142
	ds_load_2addr_b32 v[8:9], v8 offset0:104 offset1:194
	;; [unrolled: 1-line block ×11, first 2 shown]
	ds_load_b32 v29, v45 offset:8640
	v_add_co_u32 v0, vcc_lo, v2, v0
	s_wait_alu 0xfffd
	v_add_co_ci_u32_e32 v1, vcc_lo, v3, v1, vcc_lo
	v_cmp_eq_u32_e32 vcc_lo, 0x59, v20
	s_wait_dscnt 0xc
	s_clause 0x1
	global_store_b32 v[0:1], v4, off
	global_store_b32 v[0:1], v5, off offset:360
	s_wait_dscnt 0xb
	s_clause 0x1
	global_store_b32 v[0:1], v6, off offset:720
	global_store_b32 v[0:1], v7, off offset:1080
	s_wait_dscnt 0xa
	s_clause 0x1
	global_store_b32 v[0:1], v8, off offset:1440
	;; [unrolled: 4-line block ×11, first 2 shown]
	global_store_b32 v[0:1], v28, off offset:8280
	s_wait_dscnt 0x0
	global_store_b32 v[0:1], v29, off offset:8640
	s_and_b32 exec_lo, exec_lo, vcc_lo
	s_cbranch_execz .LBB0_32
; %bb.31:
	v_mov_b32_e32 v0, 0
	ds_load_b32 v0, v0 offset:9000
	s_wait_dscnt 0x0
	global_store_b32 v[2:3], v0, off offset:9000
.LBB0_32:
	s_nop 0
	s_sendmsg sendmsg(MSG_DEALLOC_VGPRS)
	s_endpgm
	.section	.rodata,"a",@progbits
	.p2align	6, 0x0
	.amdhsa_kernel fft_rtc_fwd_len2250_factors_10_3_5_3_5_wgs_90_tpt_90_halfLds_half_ip_CI_unitstride_sbrr_R2C_dirReg
		.amdhsa_group_segment_fixed_size 0
		.amdhsa_private_segment_fixed_size 0
		.amdhsa_kernarg_size 88
		.amdhsa_user_sgpr_count 2
		.amdhsa_user_sgpr_dispatch_ptr 0
		.amdhsa_user_sgpr_queue_ptr 0
		.amdhsa_user_sgpr_kernarg_segment_ptr 1
		.amdhsa_user_sgpr_dispatch_id 0
		.amdhsa_user_sgpr_private_segment_size 0
		.amdhsa_wavefront_size32 1
		.amdhsa_uses_dynamic_stack 0
		.amdhsa_enable_private_segment 0
		.amdhsa_system_sgpr_workgroup_id_x 1
		.amdhsa_system_sgpr_workgroup_id_y 0
		.amdhsa_system_sgpr_workgroup_id_z 0
		.amdhsa_system_sgpr_workgroup_info 0
		.amdhsa_system_vgpr_workitem_id 0
		.amdhsa_next_free_vgpr 123
		.amdhsa_next_free_sgpr 32
		.amdhsa_reserve_vcc 1
		.amdhsa_float_round_mode_32 0
		.amdhsa_float_round_mode_16_64 0
		.amdhsa_float_denorm_mode_32 3
		.amdhsa_float_denorm_mode_16_64 3
		.amdhsa_fp16_overflow 0
		.amdhsa_workgroup_processor_mode 1
		.amdhsa_memory_ordered 1
		.amdhsa_forward_progress 0
		.amdhsa_round_robin_scheduling 0
		.amdhsa_exception_fp_ieee_invalid_op 0
		.amdhsa_exception_fp_denorm_src 0
		.amdhsa_exception_fp_ieee_div_zero 0
		.amdhsa_exception_fp_ieee_overflow 0
		.amdhsa_exception_fp_ieee_underflow 0
		.amdhsa_exception_fp_ieee_inexact 0
		.amdhsa_exception_int_div_zero 0
	.end_amdhsa_kernel
	.text
.Lfunc_end0:
	.size	fft_rtc_fwd_len2250_factors_10_3_5_3_5_wgs_90_tpt_90_halfLds_half_ip_CI_unitstride_sbrr_R2C_dirReg, .Lfunc_end0-fft_rtc_fwd_len2250_factors_10_3_5_3_5_wgs_90_tpt_90_halfLds_half_ip_CI_unitstride_sbrr_R2C_dirReg
                                        ; -- End function
	.section	.AMDGPU.csdata,"",@progbits
; Kernel info:
; codeLenInByte = 20908
; NumSgprs: 34
; NumVgprs: 123
; ScratchSize: 0
; MemoryBound: 0
; FloatMode: 240
; IeeeMode: 1
; LDSByteSize: 0 bytes/workgroup (compile time only)
; SGPRBlocks: 4
; VGPRBlocks: 15
; NumSGPRsForWavesPerEU: 34
; NumVGPRsForWavesPerEU: 123
; Occupancy: 10
; WaveLimiterHint : 1
; COMPUTE_PGM_RSRC2:SCRATCH_EN: 0
; COMPUTE_PGM_RSRC2:USER_SGPR: 2
; COMPUTE_PGM_RSRC2:TRAP_HANDLER: 0
; COMPUTE_PGM_RSRC2:TGID_X_EN: 1
; COMPUTE_PGM_RSRC2:TGID_Y_EN: 0
; COMPUTE_PGM_RSRC2:TGID_Z_EN: 0
; COMPUTE_PGM_RSRC2:TIDIG_COMP_CNT: 0
	.text
	.p2alignl 7, 3214868480
	.fill 96, 4, 3214868480
	.type	__hip_cuid_a4e833f53f935519,@object ; @__hip_cuid_a4e833f53f935519
	.section	.bss,"aw",@nobits
	.globl	__hip_cuid_a4e833f53f935519
__hip_cuid_a4e833f53f935519:
	.byte	0                               ; 0x0
	.size	__hip_cuid_a4e833f53f935519, 1

	.ident	"AMD clang version 19.0.0git (https://github.com/RadeonOpenCompute/llvm-project roc-6.4.0 25133 c7fe45cf4b819c5991fe208aaa96edf142730f1d)"
	.section	".note.GNU-stack","",@progbits
	.addrsig
	.addrsig_sym __hip_cuid_a4e833f53f935519
	.amdgpu_metadata
---
amdhsa.kernels:
  - .args:
      - .actual_access:  read_only
        .address_space:  global
        .offset:         0
        .size:           8
        .value_kind:     global_buffer
      - .offset:         8
        .size:           8
        .value_kind:     by_value
      - .actual_access:  read_only
        .address_space:  global
        .offset:         16
        .size:           8
        .value_kind:     global_buffer
      - .actual_access:  read_only
        .address_space:  global
        .offset:         24
        .size:           8
        .value_kind:     global_buffer
      - .offset:         32
        .size:           8
        .value_kind:     by_value
      - .actual_access:  read_only
        .address_space:  global
        .offset:         40
        .size:           8
        .value_kind:     global_buffer
      - .actual_access:  read_only
        .address_space:  global
        .offset:         48
        .size:           8
        .value_kind:     global_buffer
      - .offset:         56
        .size:           4
        .value_kind:     by_value
      - .actual_access:  read_only
        .address_space:  global
        .offset:         64
        .size:           8
        .value_kind:     global_buffer
      - .actual_access:  read_only
        .address_space:  global
        .offset:         72
        .size:           8
        .value_kind:     global_buffer
      - .address_space:  global
        .offset:         80
        .size:           8
        .value_kind:     global_buffer
    .group_segment_fixed_size: 0
    .kernarg_segment_align: 8
    .kernarg_segment_size: 88
    .language:       OpenCL C
    .language_version:
      - 2
      - 0
    .max_flat_workgroup_size: 90
    .name:           fft_rtc_fwd_len2250_factors_10_3_5_3_5_wgs_90_tpt_90_halfLds_half_ip_CI_unitstride_sbrr_R2C_dirReg
    .private_segment_fixed_size: 0
    .sgpr_count:     34
    .sgpr_spill_count: 0
    .symbol:         fft_rtc_fwd_len2250_factors_10_3_5_3_5_wgs_90_tpt_90_halfLds_half_ip_CI_unitstride_sbrr_R2C_dirReg.kd
    .uniform_work_group_size: 1
    .uses_dynamic_stack: false
    .vgpr_count:     123
    .vgpr_spill_count: 0
    .wavefront_size: 32
    .workgroup_processor_mode: 1
amdhsa.target:   amdgcn-amd-amdhsa--gfx1201
amdhsa.version:
  - 1
  - 2
...

	.end_amdgpu_metadata
